;; amdgpu-corpus repo=ROCm/rocFFT kind=compiled arch=gfx906 opt=O3
	.text
	.amdgcn_target "amdgcn-amd-amdhsa--gfx906"
	.amdhsa_code_object_version 6
	.protected	bluestein_single_fwd_len1440_dim1_sp_op_CI_CI ; -- Begin function bluestein_single_fwd_len1440_dim1_sp_op_CI_CI
	.globl	bluestein_single_fwd_len1440_dim1_sp_op_CI_CI
	.p2align	8
	.type	bluestein_single_fwd_len1440_dim1_sp_op_CI_CI,@function
bluestein_single_fwd_len1440_dim1_sp_op_CI_CI: ; @bluestein_single_fwd_len1440_dim1_sp_op_CI_CI
; %bb.0:
	s_load_dwordx4 s[12:15], s[4:5], 0x28
	v_mul_u32_u24_e32 v1, 0x2d9, v0
	v_mov_b32_e32 v123, 0
	v_add_u32_sdwa v126, s6, v1 dst_sel:DWORD dst_unused:UNUSED_PAD src0_sel:DWORD src1_sel:WORD_1
	v_mov_b32_e32 v127, v123
	s_waitcnt lgkmcnt(0)
	v_cmp_gt_u64_e32 vcc, s[12:13], v[126:127]
	s_and_saveexec_b64 s[0:1], vcc
	s_cbranch_execz .LBB0_31
; %bb.1:
	s_load_dwordx4 s[0:3], s[4:5], 0x18
	s_load_dwordx2 s[16:17], s[4:5], 0x0
	s_waitcnt lgkmcnt(0)
	s_load_dwordx4 s[8:11], s[0:1], 0x0
	s_movk_i32 s0, 0x5a
	v_mul_lo_u16_sdwa v1, v1, s0 dst_sel:DWORD dst_unused:UNUSED_PAD src0_sel:WORD_1 src1_sel:DWORD
	v_sub_u16_e32 v122, v0, v1
	v_lshlrev_b32_e32 v149, 3, v122
	s_waitcnt lgkmcnt(0)
	v_mad_u64_u32 v[0:1], s[0:1], s10, v126, 0
	v_mad_u64_u32 v[2:3], s[0:1], s8, v122, 0
	v_or_b32_e32 v150, 0x480, v122
	v_lshlrev_b32_e32 v151, 3, v150
	v_mad_u64_u32 v[4:5], s[0:1], s11, v126, v[1:2]
	v_mad_u64_u32 v[5:6], s[0:1], s9, v122, v[3:4]
	v_mov_b32_e32 v1, v4
	v_lshlrev_b64 v[0:1], 3, v[0:1]
	v_mov_b32_e32 v6, s15
	v_mov_b32_e32 v3, v5
	v_add_co_u32_e32 v24, vcc, s14, v0
	v_addc_co_u32_e32 v25, vcc, v6, v1, vcc
	v_lshlrev_b64 v[0:1], 3, v[2:3]
	s_mul_i32 s0, s9, 0x90
	v_add_co_u32_e32 v0, vcc, v24, v0
	v_addc_co_u32_e32 v1, vcc, v25, v1, vcc
	s_mul_hi_u32 s1, s8, 0x90
	v_mov_b32_e32 v2, s17
	v_add_co_u32_e32 v116, vcc, s16, v149
	s_add_i32 s1, s1, s0
	s_mul_i32 s0, s8, 0x90
	v_addc_co_u32_e32 v117, vcc, 0, v2, vcc
	s_lshl_b64 s[6:7], s[0:1], 3
	v_mov_b32_e32 v22, s7
	v_add_co_u32_e32 v2, vcc, s6, v0
	v_addc_co_u32_e32 v3, vcc, v1, v22, vcc
	v_add_co_u32_e32 v4, vcc, s6, v2
	v_addc_co_u32_e32 v5, vcc, v3, v22, vcc
	;; [unrolled: 2-line block ×3, first 2 shown]
	global_load_dwordx2 v[8:9], v[0:1], off
	global_load_dwordx2 v[10:11], v[2:3], off
	;; [unrolled: 1-line block ×4, first 2 shown]
	global_load_dwordx2 v[139:140], v149, s[16:17]
	global_load_dwordx2 v[137:138], v149, s[16:17] offset:1152
	global_load_dwordx2 v[131:132], v149, s[16:17] offset:2304
	;; [unrolled: 1-line block ×3, first 2 shown]
	v_add_co_u32_e32 v2, vcc, s6, v6
	v_addc_co_u32_e32 v3, vcc, v7, v22, vcc
	s_movk_i32 s0, 0x1000
	v_add_co_u32_e32 v0, vcc, s0, v116
	v_mad_u64_u32 v[4:5], s[0:1], s8, v150, 0
	v_addc_co_u32_e32 v1, vcc, 0, v117, vcc
	global_load_dwordx2 v[16:17], v[2:3], off
	v_add_co_u32_e32 v2, vcc, s6, v2
	v_mad_u64_u32 v[5:6], s[0:1], s9, v150, v[5:6]
	v_addc_co_u32_e32 v3, vcc, v3, v22, vcc
	global_load_dwordx2 v[18:19], v[2:3], off
	v_add_co_u32_e32 v2, vcc, s6, v2
	v_addc_co_u32_e32 v3, vcc, v3, v22, vcc
	global_load_dwordx2 v[20:21], v[2:3], off
	v_add_co_u32_e32 v2, vcc, s6, v2
	v_lshlrev_b64 v[4:5], 3, v[4:5]
	v_addc_co_u32_e32 v3, vcc, v3, v22, vcc
	v_add_co_u32_e32 v4, vcc, v24, v4
	v_addc_co_u32_e32 v5, vcc, v25, v5, vcc
	global_load_dwordx2 v[22:23], v[2:3], off
	global_load_dwordx2 v[135:136], v[0:1], off offset:512
	global_load_dwordx2 v[133:134], v[0:1], off offset:1664
	global_load_dwordx2 v[129:130], v[0:1], off offset:2816
	global_load_dwordx2 v[124:125], v[0:1], off offset:3968
	global_load_dwordx2 v[24:25], v[4:5], off
	v_mov_b32_e32 v4, 0x900
	v_mad_u64_u32 v[4:5], s[0:1], s8, v4, v[2:3]
	s_mul_i32 s0, s9, 0x900
	global_load_dwordx2 v[120:121], v151, s[16:17]
	v_add_u32_e32 v5, s0, v5
	s_movk_i32 s0, 0x2000
	v_add_co_u32_e32 v2, vcc, s0, v116
	v_addc_co_u32_e32 v3, vcc, 0, v117, vcc
	global_load_dwordx2 v[118:119], v[2:3], off offset:2176
	global_load_dwordx2 v[26:27], v[4:5], off
	s_load_dwordx2 s[10:11], s[4:5], 0x38
	s_load_dwordx4 s[12:15], s[2:3], 0x0
	v_cmp_gt_u16_e64 s[0:1], 54, v122
	s_waitcnt vmcnt(15)
	v_mul_f32_e32 v6, v9, v140
	v_mul_f32_e32 v7, v8, v140
	v_fmac_f32_e32 v6, v8, v139
	v_fma_f32 v7, v9, v139, -v7
	s_waitcnt vmcnt(14)
	v_mul_f32_e32 v8, v11, v138
	v_mul_f32_e32 v9, v10, v138
	v_fmac_f32_e32 v8, v10, v137
	v_fma_f32 v9, v11, v137, -v9
	ds_write2_b64 v149, v[6:7], v[8:9] offset1:144
	s_waitcnt vmcnt(13)
	v_mul_f32_e32 v6, v12, v132
	v_mul_f32_e32 v7, v13, v132
	v_fma_f32 v8, v13, v131, -v6
	s_waitcnt vmcnt(12)
	v_mul_f32_e32 v9, v15, v128
	v_mul_f32_e32 v6, v14, v128
	v_fmac_f32_e32 v7, v12, v131
	v_fmac_f32_e32 v9, v14, v127
	v_fma_f32 v10, v15, v127, -v6
	v_add_u32_e32 v6, 0x800, v149
	ds_write2_b64 v6, v[7:8], v[9:10] offset0:32 offset1:176
	s_waitcnt vmcnt(7)
	v_mul_f32_e32 v7, v16, v136
	v_mul_f32_e32 v8, v17, v136
	v_fma_f32 v9, v17, v135, -v7
	s_waitcnt vmcnt(6)
	v_mul_f32_e32 v10, v19, v134
	v_mul_f32_e32 v7, v18, v134
	v_fmac_f32_e32 v8, v16, v135
	v_fmac_f32_e32 v10, v18, v133
	v_fma_f32 v11, v19, v133, -v7
	v_add_u32_e32 v7, 0x1000, v149
	ds_write2_b64 v7, v[8:9], v[10:11] offset0:64 offset1:208
	;; [unrolled: 12-line block ×3, first 2 shown]
	s_waitcnt vmcnt(2)
	v_mul_f32_e32 v9, v24, v121
	v_mul_f32_e32 v10, v25, v121
	v_fma_f32 v11, v25, v120, -v9
	s_waitcnt vmcnt(0)
	v_mul_f32_e32 v12, v27, v119
	v_mul_f32_e32 v9, v26, v119
	v_fmac_f32_e32 v10, v24, v120
	v_fmac_f32_e32 v12, v26, v118
	v_fma_f32 v13, v27, v118, -v9
	v_add_u32_e32 v9, 0x2400, v149
	ds_write2_b64 v9, v[10:11], v[12:13] offset1:144
	s_and_saveexec_b64 s[2:3], s[0:1]
	s_cbranch_execz .LBB0_3
; %bb.2:
	v_mov_b32_e32 v10, 0xffffda50
	v_mad_u64_u32 v[4:5], s[18:19], s8, v10, v[4:5]
	s_mulk_i32 s9, 0xda50
	s_sub_i32 s8, s9, s8
	v_add_u32_e32 v5, s8, v5
	global_load_dwordx2 v[10:11], v[4:5], off
	global_load_dwordx2 v[12:13], v[116:117], off offset:720
	v_mov_b32_e32 v44, s7
	v_add_co_u32_e32 v4, vcc, s6, v4
	v_addc_co_u32_e32 v5, vcc, v5, v44, vcc
	global_load_dwordx2 v[14:15], v[4:5], off
	v_add_co_u32_e32 v4, vcc, s6, v4
	v_addc_co_u32_e32 v5, vcc, v5, v44, vcc
	global_load_dwordx2 v[16:17], v[4:5], off
	;; [unrolled: 3-line block ×3, first 2 shown]
	global_load_dwordx2 v[20:21], v[116:117], off offset:1872
	global_load_dwordx2 v[22:23], v[116:117], off offset:3024
	;; [unrolled: 1-line block ×3, first 2 shown]
	v_add_co_u32_e32 v4, vcc, s6, v4
	v_addc_co_u32_e32 v5, vcc, v5, v44, vcc
	global_load_dwordx2 v[26:27], v[4:5], off
	global_load_dwordx2 v[28:29], v[0:1], off offset:1232
	v_add_co_u32_e32 v4, vcc, s6, v4
	v_addc_co_u32_e32 v5, vcc, v5, v44, vcc
	global_load_dwordx2 v[30:31], v[4:5], off
	v_add_co_u32_e32 v4, vcc, s6, v4
	v_addc_co_u32_e32 v5, vcc, v5, v44, vcc
	global_load_dwordx2 v[32:33], v[4:5], off
	global_load_dwordx2 v[34:35], v[0:1], off offset:2384
	global_load_dwordx2 v[36:37], v[0:1], off offset:3536
	v_add_co_u32_e32 v0, vcc, s6, v4
	v_addc_co_u32_e32 v1, vcc, v5, v44, vcc
	global_load_dwordx2 v[4:5], v[0:1], off
	global_load_dwordx2 v[38:39], v[2:3], off offset:592
	v_add_co_u32_e32 v0, vcc, s6, v0
	v_addc_co_u32_e32 v1, vcc, v1, v44, vcc
	global_load_dwordx2 v[40:41], v[0:1], off
	global_load_dwordx2 v[42:43], v[2:3], off offset:1744
	v_add_co_u32_e32 v0, vcc, s6, v0
	v_addc_co_u32_e32 v1, vcc, v1, v44, vcc
	global_load_dwordx2 v[44:45], v[2:3], off offset:2896
	global_load_dwordx2 v[46:47], v[0:1], off
	v_add_u32_e32 v48, 0xa00, v149
	v_add_u32_e32 v49, 0x1400, v149
	s_waitcnt vmcnt(18)
	v_mul_f32_e32 v0, v11, v13
	v_mul_f32_e32 v1, v10, v13
	v_fmac_f32_e32 v0, v10, v12
	v_fma_f32 v1, v11, v12, -v1
	s_waitcnt vmcnt(14)
	v_mul_f32_e32 v2, v15, v21
	v_mul_f32_e32 v3, v14, v21
	v_fmac_f32_e32 v2, v14, v20
	v_fma_f32 v3, v15, v20, -v3
	s_waitcnt vmcnt(13)
	v_mul_f32_e32 v10, v17, v23
	v_mul_f32_e32 v11, v16, v23
	ds_write2_b64 v149, v[0:1], v[2:3] offset0:90 offset1:234
	s_waitcnt vmcnt(12)
	v_mul_f32_e32 v0, v19, v25
	v_mul_f32_e32 v1, v18, v25
	v_fmac_f32_e32 v10, v16, v22
	v_fma_f32 v11, v17, v22, -v11
	v_fmac_f32_e32 v0, v18, v24
	v_fma_f32 v1, v19, v24, -v1
	s_waitcnt vmcnt(10)
	v_mul_f32_e32 v2, v27, v29
	v_mul_f32_e32 v3, v26, v29
	ds_write2_b64 v48, v[10:11], v[0:1] offset0:58 offset1:202
	s_waitcnt vmcnt(7)
	v_mul_f32_e32 v0, v31, v35
	v_mul_f32_e32 v1, v30, v35
	v_fmac_f32_e32 v2, v26, v28
	v_fma_f32 v3, v27, v28, -v3
	v_fmac_f32_e32 v0, v30, v34
	v_fma_f32 v1, v31, v34, -v1
	ds_write2_b64 v49, v[2:3], v[0:1] offset0:26 offset1:170
	s_waitcnt vmcnt(6)
	v_mul_f32_e32 v0, v32, v37
	v_mul_f32_e32 v10, v33, v37
	v_fma_f32 v11, v33, v36, -v0
	s_waitcnt vmcnt(4)
	v_mul_f32_e32 v0, v5, v39
	v_mul_f32_e32 v1, v4, v39
	v_fmac_f32_e32 v10, v32, v36
	v_fmac_f32_e32 v0, v4, v38
	v_fma_f32 v1, v5, v38, -v1
	v_add_u32_e32 v2, 0x1c00, v149
	ds_write2_b64 v2, v[10:11], v[0:1] offset0:58 offset1:202
	s_waitcnt vmcnt(2)
	v_mul_f32_e32 v0, v41, v43
	v_mul_f32_e32 v1, v40, v43
	s_waitcnt vmcnt(0)
	v_mul_f32_e32 v2, v47, v45
	v_mul_f32_e32 v3, v46, v45
	v_fmac_f32_e32 v0, v40, v42
	v_fma_f32 v1, v41, v42, -v1
	v_fmac_f32_e32 v2, v46, v44
	v_fma_f32 v3, v47, v44, -v3
	ds_write2_b64 v9, v[0:1], v[2:3] offset0:90 offset1:234
.LBB0_3:
	s_or_b64 exec, exec, s[2:3]
	s_waitcnt lgkmcnt(0)
	s_barrier
	ds_read2_b64 v[0:3], v149 offset1:144
	ds_read2_b64 v[24:27], v6 offset0:32 offset1:176
	ds_read2_b64 v[28:31], v7 offset0:64 offset1:208
	;; [unrolled: 1-line block ×3, first 2 shown]
	ds_read2_b64 v[36:39], v9 offset1:144
	s_load_dwordx2 s[18:19], s[4:5], 0x8
                                        ; implicit-def: $vgpr6
                                        ; implicit-def: $vgpr16
                                        ; implicit-def: $vgpr20
                                        ; implicit-def: $vgpr14
                                        ; implicit-def: $vgpr10
	s_and_saveexec_b64 s[2:3], s[0:1]
	s_cbranch_execz .LBB0_5
; %bb.4:
	v_add_u32_e32 v4, 0xa00, v149
	ds_read2_b64 v[12:15], v4 offset0:58 offset1:202
	v_add_u32_e32 v4, 0x1400, v149
	v_add_u32_e32 v16, 0x1c00, v149
	;; [unrolled: 1-line block ×3, first 2 shown]
	ds_read2_b64 v[8:11], v149 offset0:90 offset1:234
	ds_read2_b64 v[4:7], v4 offset0:26 offset1:170
	;; [unrolled: 1-line block ×4, first 2 shown]
.LBB0_5:
	s_or_b64 exec, exec, s[2:3]
	s_waitcnt lgkmcnt(0)
	v_add_f32_e32 v42, v28, v32
	v_fma_f32 v42, -0.5, v42, v0
	v_sub_f32_e32 v43, v25, v37
	v_mov_b32_e32 v44, v42
	v_fmac_f32_e32 v44, 0x3f737871, v43
	v_sub_f32_e32 v45, v29, v33
	v_sub_f32_e32 v46, v24, v28
	;; [unrolled: 1-line block ×3, first 2 shown]
	v_fmac_f32_e32 v42, 0xbf737871, v43
	v_fmac_f32_e32 v44, 0x3f167918, v45
	v_add_f32_e32 v46, v46, v47
	v_fmac_f32_e32 v42, 0xbf167918, v45
	v_fmac_f32_e32 v44, 0x3e9e377a, v46
	;; [unrolled: 1-line block ×3, first 2 shown]
	v_add_f32_e32 v46, v24, v36
	v_add_f32_e32 v41, v0, v24
	v_fma_f32 v0, -0.5, v46, v0
	v_mov_b32_e32 v56, v0
	v_add_f32_e32 v41, v41, v28
	v_fmac_f32_e32 v56, 0xbf737871, v45
	v_fmac_f32_e32 v0, 0x3f737871, v45
	v_add_f32_e32 v45, v29, v33
	v_add_f32_e32 v41, v41, v32
	v_fma_f32 v64, -0.5, v45, v1
	v_add_f32_e32 v41, v41, v36
	v_sub_f32_e32 v46, v28, v24
	v_sub_f32_e32 v47, v32, v36
	;; [unrolled: 1-line block ×3, first 2 shown]
	v_mov_b32_e32 v36, v64
	v_fmac_f32_e32 v36, 0xbf737871, v24
	v_sub_f32_e32 v28, v28, v32
	v_sub_f32_e32 v32, v25, v29
	;; [unrolled: 1-line block ×3, first 2 shown]
	v_fmac_f32_e32 v64, 0x3f737871, v24
	v_fmac_f32_e32 v36, 0xbf167918, v28
	v_add_f32_e32 v32, v32, v45
	v_fmac_f32_e32 v64, 0x3f167918, v28
	v_fmac_f32_e32 v36, 0x3e9e377a, v32
	;; [unrolled: 1-line block ×3, first 2 shown]
	v_add_f32_e32 v32, v25, v37
	v_fmac_f32_e32 v56, 0x3f167918, v43
	v_fmac_f32_e32 v0, 0xbf167918, v43
	v_add_f32_e32 v43, v1, v25
	v_fma_f32 v1, -0.5, v32, v1
	v_mov_b32_e32 v32, v1
	v_add_f32_e32 v43, v43, v29
	v_fmac_f32_e32 v32, 0x3f737871, v28
	v_sub_f32_e32 v25, v29, v25
	v_sub_f32_e32 v29, v33, v37
	v_fmac_f32_e32 v1, 0xbf737871, v28
	v_fmac_f32_e32 v32, 0xbf167918, v24
	v_add_f32_e32 v25, v25, v29
	v_fmac_f32_e32 v1, 0x3f167918, v24
	v_fmac_f32_e32 v32, 0x3e9e377a, v25
	;; [unrolled: 1-line block ×3, first 2 shown]
	v_add_f32_e32 v25, v30, v34
	v_fma_f32 v25, -0.5, v25, v2
	v_add_f32_e32 v43, v43, v33
	v_sub_f32_e32 v28, v27, v39
	v_mov_b32_e32 v29, v25
	v_add_f32_e32 v43, v43, v37
	v_fmac_f32_e32 v29, 0x3f737871, v28
	v_sub_f32_e32 v33, v31, v35
	v_sub_f32_e32 v37, v26, v30
	;; [unrolled: 1-line block ×3, first 2 shown]
	v_fmac_f32_e32 v25, 0xbf737871, v28
	v_fmac_f32_e32 v29, 0x3f167918, v33
	v_add_f32_e32 v37, v37, v45
	v_fmac_f32_e32 v25, 0xbf167918, v33
	v_fmac_f32_e32 v29, 0x3e9e377a, v37
	;; [unrolled: 1-line block ×3, first 2 shown]
	v_add_f32_e32 v37, v26, v38
	v_add_f32_e32 v24, v2, v26
	v_fma_f32 v2, -0.5, v37, v2
	v_mov_b32_e32 v37, v2
	v_add_f32_e32 v46, v46, v47
	v_add_f32_e32 v24, v24, v30
	v_fmac_f32_e32 v37, 0xbf737871, v33
	v_fmac_f32_e32 v2, 0x3f737871, v33
	v_add_f32_e32 v33, v31, v35
	v_fmac_f32_e32 v56, 0x3e9e377a, v46
	v_fmac_f32_e32 v0, 0x3e9e377a, v46
	v_add_f32_e32 v24, v24, v34
	v_sub_f32_e32 v45, v30, v26
	v_sub_f32_e32 v46, v34, v38
	v_fma_f32 v33, -0.5, v33, v3
	v_add_f32_e32 v24, v24, v38
	v_fmac_f32_e32 v37, 0x3f167918, v28
	v_add_f32_e32 v45, v45, v46
	v_fmac_f32_e32 v2, 0xbf167918, v28
	v_sub_f32_e32 v26, v26, v38
	v_mov_b32_e32 v38, v33
	v_fmac_f32_e32 v37, 0x3e9e377a, v45
	v_fmac_f32_e32 v2, 0x3e9e377a, v45
	;; [unrolled: 1-line block ×3, first 2 shown]
	v_sub_f32_e32 v30, v30, v34
	v_sub_f32_e32 v34, v27, v31
	;; [unrolled: 1-line block ×3, first 2 shown]
	v_fmac_f32_e32 v33, 0x3f737871, v26
	v_fmac_f32_e32 v38, 0xbf167918, v30
	v_add_f32_e32 v34, v34, v45
	v_fmac_f32_e32 v33, 0x3f167918, v30
	v_fmac_f32_e32 v38, 0x3e9e377a, v34
	;; [unrolled: 1-line block ×3, first 2 shown]
	v_add_f32_e32 v34, v27, v39
	s_movk_i32 s2, 0x5a
	v_add_f32_e32 v28, v3, v27
	v_fmac_f32_e32 v3, -0.5, v34
	v_add_co_u32_e32 v158, vcc, s2, v122
	v_add_f32_e32 v28, v28, v31
	v_mov_b32_e32 v34, v3
	v_sub_f32_e32 v27, v31, v27
	v_sub_f32_e32 v31, v35, v39
	v_fmac_f32_e32 v3, 0xbf737871, v30
	v_addc_co_u32_e64 v40, s[2:3], 0, 0, vcc
	v_add_f32_e32 v27, v27, v31
	v_fmac_f32_e32 v3, 0x3f167918, v26
	s_mov_b32 s2, 0x3f737871
	v_fmac_f32_e32 v34, 0x3f737871, v30
	v_fmac_f32_e32 v3, 0x3e9e377a, v27
	v_mul_f32_e32 v30, 0x3e9e377a, v2
	s_mov_b32 s4, 0xbf737871
	v_fma_f32 v30, v3, s2, -v30
	v_mul_f32_e32 v3, 0x3e9e377a, v3
	s_mov_b32 s5, 0xbf167918
	v_add_f32_e32 v51, v0, v30
	v_fma_f32 v2, v2, s4, -v3
	v_mul_f32_e32 v3, 0x3f4f1bbd, v33
	v_sub_f32_e32 v61, v0, v30
	v_add_f32_e32 v0, v16, v4
	v_mul_f32_e32 v31, 0x3f4f1bbd, v25
	v_fma_f32 v3, v25, s5, -v3
	v_fma_f32 v25, -0.5, v0, v8
	v_fmac_f32_e32 v34, 0xbf167918, v26
	v_add_f32_e32 v45, v41, v24
	v_sub_f32_e32 v55, v41, v24
	v_sub_f32_e32 v0, v13, v21
	v_mov_b32_e32 v24, v25
	v_fmac_f32_e32 v34, 0x3e9e377a, v27
	v_add_f32_e32 v52, v1, v2
	v_add_f32_e32 v54, v64, v3
	v_sub_f32_e32 v62, v1, v2
	v_sub_f32_e32 v64, v64, v3
	v_fmac_f32_e32 v24, 0x3f737871, v0
	v_sub_f32_e32 v1, v5, v17
	v_sub_f32_e32 v2, v12, v4
	;; [unrolled: 1-line block ×3, first 2 shown]
	v_fmac_f32_e32 v25, 0xbf737871, v0
	v_mul_f32_e32 v27, 0x3f737871, v34
	v_fmac_f32_e32 v24, 0x3f167918, v1
	v_add_f32_e32 v2, v3, v2
	v_fmac_f32_e32 v25, 0xbf167918, v1
	v_mul_f32_e32 v26, 0x3f4f1bbd, v29
	v_fmac_f32_e32 v27, 0x3e9e377a, v37
	v_fmac_f32_e32 v24, 0x3e9e377a, v2
	;; [unrolled: 1-line block ×3, first 2 shown]
	v_add_f32_e32 v2, v20, v12
	v_fmac_f32_e32 v26, 0x3f167918, v38
	v_add_f32_e32 v49, v56, v27
	v_sub_f32_e32 v59, v56, v27
	v_fma_f32 v27, -0.5, v2, v8
	v_add_f32_e32 v47, v44, v26
	v_sub_f32_e32 v57, v44, v26
	v_mov_b32_e32 v26, v27
	v_mul_f32_e32 v29, 0xbf167918, v29
	v_fmac_f32_e32 v26, 0xbf737871, v1
	v_fmac_f32_e32 v27, 0x3f737871, v1
	v_add_f32_e32 v28, v28, v35
	v_fmac_f32_e32 v29, 0x3f4f1bbd, v38
	v_fmac_f32_e32 v26, 0x3f167918, v0
	;; [unrolled: 1-line block ×3, first 2 shown]
	v_add_f32_e32 v0, v17, v5
	v_add_f32_e32 v28, v28, v39
	;; [unrolled: 1-line block ×3, first 2 shown]
	v_sub_f32_e32 v58, v36, v29
	v_sub_f32_e32 v2, v4, v12
	v_sub_f32_e32 v3, v16, v20
	v_fma_f32 v29, -0.5, v0, v9
	v_add_f32_e32 v46, v43, v28
	v_sub_f32_e32 v56, v43, v28
	v_add_f32_e32 v2, v3, v2
	v_sub_f32_e32 v0, v12, v20
	v_mov_b32_e32 v28, v29
	v_fmac_f32_e32 v26, 0x3e9e377a, v2
	v_fmac_f32_e32 v27, 0x3e9e377a, v2
	;; [unrolled: 1-line block ×3, first 2 shown]
	v_sub_f32_e32 v1, v4, v16
	v_sub_f32_e32 v2, v13, v5
	;; [unrolled: 1-line block ×3, first 2 shown]
	v_fmac_f32_e32 v29, 0x3f737871, v0
	s_mov_b32 s3, 0x3f167918
	v_fmac_f32_e32 v28, 0xbf167918, v1
	v_add_f32_e32 v2, v3, v2
	v_fmac_f32_e32 v29, 0x3f167918, v1
	v_fma_f32 v31, v33, s3, -v31
	v_fmac_f32_e32 v28, 0x3e9e377a, v2
	v_fmac_f32_e32 v29, 0x3e9e377a, v2
	v_add_f32_e32 v2, v21, v13
	v_add_f32_e32 v53, v42, v31
	v_sub_f32_e32 v63, v42, v31
	v_fma_f32 v31, -0.5, v2, v9
	v_mov_b32_e32 v30, v31
	v_fmac_f32_e32 v30, 0x3f737871, v1
	v_fmac_f32_e32 v31, 0xbf737871, v1
	;; [unrolled: 1-line block ×3, first 2 shown]
	v_sub_f32_e32 v2, v5, v13
	v_sub_f32_e32 v3, v17, v21
	v_fmac_f32_e32 v31, 0x3f167918, v0
	v_add_f32_e32 v0, v6, v18
	v_mul_f32_e32 v35, 0xbf737871, v37
	v_add_f32_e32 v2, v3, v2
	v_fma_f32 v0, -0.5, v0, v10
	v_fmac_f32_e32 v35, 0x3e9e377a, v34
	v_fmac_f32_e32 v30, 0x3e9e377a, v2
	;; [unrolled: 1-line block ×3, first 2 shown]
	v_sub_f32_e32 v1, v15, v23
	v_mov_b32_e32 v2, v0
	v_add_f32_e32 v50, v32, v35
	v_sub_f32_e32 v60, v32, v35
	v_fmac_f32_e32 v2, 0x3f737871, v1
	v_sub_f32_e32 v3, v7, v19
	v_sub_f32_e32 v32, v14, v6
	;; [unrolled: 1-line block ×3, first 2 shown]
	v_fmac_f32_e32 v0, 0xbf737871, v1
	v_fmac_f32_e32 v2, 0x3f167918, v3
	v_add_f32_e32 v32, v33, v32
	v_fmac_f32_e32 v0, 0xbf167918, v3
	v_fmac_f32_e32 v2, 0x3e9e377a, v32
	v_fmac_f32_e32 v0, 0x3e9e377a, v32
	v_add_f32_e32 v32, v22, v14
	v_fma_f32 v32, -0.5, v32, v10
	v_mov_b32_e32 v33, v32
	v_fmac_f32_e32 v33, 0xbf737871, v3
	v_fmac_f32_e32 v32, 0x3f737871, v3
	;; [unrolled: 1-line block ×3, first 2 shown]
	v_sub_f32_e32 v34, v6, v14
	v_sub_f32_e32 v35, v18, v22
	v_fmac_f32_e32 v32, 0xbf167918, v1
	v_add_f32_e32 v1, v7, v19
	v_add_f32_e32 v34, v35, v34
	v_fma_f32 v1, -0.5, v1, v11
	v_fmac_f32_e32 v33, 0x3e9e377a, v34
	v_fmac_f32_e32 v32, 0x3e9e377a, v34
	v_sub_f32_e32 v3, v14, v22
	v_mov_b32_e32 v34, v1
	v_fmac_f32_e32 v34, 0xbf737871, v3
	v_sub_f32_e32 v35, v6, v18
	v_sub_f32_e32 v36, v15, v7
	;; [unrolled: 1-line block ×3, first 2 shown]
	v_fmac_f32_e32 v1, 0x3f737871, v3
	v_fmac_f32_e32 v34, 0xbf167918, v35
	v_add_f32_e32 v36, v37, v36
	v_fmac_f32_e32 v1, 0x3f167918, v35
	v_fmac_f32_e32 v34, 0x3e9e377a, v36
	;; [unrolled: 1-line block ×3, first 2 shown]
	v_add_f32_e32 v36, v23, v15
	v_fma_f32 v43, -0.5, v36, v11
	v_mov_b32_e32 v44, v43
	v_sub_f32_e32 v36, v7, v15
	v_sub_f32_e32 v37, v19, v23
	v_fmac_f32_e32 v43, 0xbf737871, v35
	v_fmac_f32_e32 v44, 0x3f737871, v35
	v_add_f32_e32 v36, v37, v36
	v_fmac_f32_e32 v43, 0x3f167918, v3
	v_fmac_f32_e32 v44, 0xbf167918, v3
	;; [unrolled: 1-line block ×3, first 2 shown]
	v_mul_f32_e32 v3, 0x3e9e377a, v32
	v_fmac_f32_e32 v44, 0x3e9e377a, v36
	v_mul_f32_e32 v36, 0x3f167918, v34
	v_fma_f32 v38, v43, s2, -v3
	v_mul_f32_e32 v3, 0x3f4f1bbd, v0
	v_fmac_f32_e32 v36, 0x3f4f1bbd, v2
	v_mul_f32_e32 v37, 0x3f737871, v44
	v_fma_f32 v39, v1, s3, -v3
	v_mul_f32_e32 v41, 0xbf167918, v2
	v_mul_f32_e32 v42, 0xbf737871, v33
	;; [unrolled: 1-line block ×4, first 2 shown]
	v_fmac_f32_e32 v37, 0x3e9e377a, v33
	v_fmac_f32_e32 v41, 0x3f4f1bbd, v34
	;; [unrolled: 1-line block ×3, first 2 shown]
	v_fma_f32 v43, v32, s4, -v2
	v_fma_f32 v44, v0, s5, -v1
	v_mul_lo_u16_e32 v65, 10, v122
	v_sub_f32_e32 v32, v24, v36
	v_sub_f32_e32 v34, v26, v37
	;; [unrolled: 1-line block ×8, first 2 shown]
	v_lshlrev_b32_e32 v153, 3, v65
	v_mul_u32_u24_e32 v152, 10, v158
	s_barrier
	ds_write_b128 v153, v[45:48]
	ds_write_b128 v153, v[49:52] offset:16
	ds_write_b128 v153, v[53:56] offset:32
	;; [unrolled: 1-line block ×4, first 2 shown]
	s_and_saveexec_b64 s[2:3], s[0:1]
	s_cbranch_execz .LBB0_7
; %bb.6:
	v_add_f32_e32 v9, v13, v9
	v_add_f32_e32 v5, v5, v9
	;; [unrolled: 1-line block ×16, first 2 shown]
	v_sub_f32_e32 v7, v13, v17
	v_sub_f32_e32 v6, v12, v16
	v_add_f32_e32 v15, v28, v41
	v_add_f32_e32 v13, v17, v13
	v_add_f32_e32 v14, v24, v36
	v_add_f32_e32 v12, v16, v12
	v_lshlrev_b32_e32 v16, 3, v152
	v_add_f32_e32 v5, v29, v44
	v_add_f32_e32 v11, v31, v43
	;; [unrolled: 1-line block ×6, first 2 shown]
	ds_write_b128 v16, v[12:15]
	ds_write_b128 v16, v[8:11] offset:16
	ds_write_b128 v16, v[4:7] offset:32
	;; [unrolled: 1-line block ×4, first 2 shown]
.LBB0_7:
	s_or_b64 exec, exec, s[2:3]
	v_add_u32_e32 v4, 0x1800, v149
	s_waitcnt lgkmcnt(0)
	s_barrier
	ds_read2_b64 v[45:48], v4 offset0:132 offset1:222
	v_add_u32_e32 v4, 0x2400, v149
	s_movk_i32 s2, 0xcd
	ds_read2_b64 v[53:56], v4 offset0:108 offset1:198
	v_mul_lo_u16_sdwa v4, v122, s2 dst_sel:DWORD dst_unused:UNUSED_PAD src0_sel:BYTE_0 src1_sel:DWORD
	v_lshrrev_b16_e32 v68, 11, v4
	v_mul_lo_u16_e32 v4, 10, v68
	v_sub_u16_e32 v4, v122, v4
	v_and_b32_e32 v69, 0xff, v4
	v_mov_b32_e32 v4, s18
	s_movk_i32 s2, 0x78
	v_mov_b32_e32 v5, s19
	v_mad_u64_u32 v[57:58], s[2:3], v69, s2, v[4:5]
	v_add_u32_e32 v67, 0x400, v149
	v_add_u32_e32 v72, 0x800, v149
	;; [unrolled: 1-line block ×5, first 2 shown]
	ds_read2_b64 v[36:39], v149 offset1:90
	ds_read2_b64 v[12:15], v67 offset0:52 offset1:142
	ds_read2_b64 v[20:23], v72 offset0:104 offset1:194
	;; [unrolled: 1-line block ×5, first 2 shown]
	global_load_dwordx4 v[4:7], v[57:58], off offset:48
	global_load_dwordx4 v[8:11], v[57:58], off offset:32
	;; [unrolled: 1-line block ×3, first 2 shown]
	global_load_dwordx4 v[24:27], v[57:58], off
	v_mul_u32_u24_e32 v68, 0xa0, v68
	v_or_b32_e32 v68, v68, v69
	v_lshlrev_b32_e32 v154, 3, v68
	v_cmp_gt_u16_e64 s[2:3], 30, v122
	s_waitcnt vmcnt(3) lgkmcnt(2)
	v_mul_f32_e32 v77, v30, v5
	s_waitcnt vmcnt(2)
	v_mul_f32_e32 v66, v22, v9
	s_waitcnt vmcnt(1)
	;; [unrolled: 2-line block ×3, first 2 shown]
	v_mul_f32_e32 v59, v39, v25
	v_fma_f32 v59, v38, v24, -v59
	v_mul_f32_e32 v38, v38, v25
	v_fmac_f32_e32 v38, v39, v24
	v_mul_f32_e32 v39, v13, v27
	v_fma_f32 v39, v12, v26, -v39
	v_mul_f32_e32 v60, v12, v27
	v_mul_f32_e32 v12, v15, v17
	v_fma_f32 v61, v14, v16, -v12
	v_mul_f32_e32 v12, v21, v19
	v_fma_f32 v63, v20, v18, -v12
	;; [unrolled: 2-line block ×4, first 2 shown]
	v_mul_f32_e32 v12, v31, v5
	v_mul_f32_e32 v64, v20, v19
	;; [unrolled: 1-line block ×3, first 2 shown]
	v_fma_f32 v76, v30, v4, -v12
	s_waitcnt lgkmcnt(1)
	v_mul_f32_e32 v12, v42, v7
	v_fmac_f32_e32 v60, v13, v26
	v_fmac_f32_e32 v62, v15, v16
	;; [unrolled: 1-line block ×6, first 2 shown]
	v_fma_f32 v78, v41, v6, -v12
	global_load_dwordx2 v[141:142], v[57:58], off offset:112
	global_load_dwordx4 v[12:15], v[57:58], off offset:96
	global_load_dwordx4 v[20:23], v[57:58], off offset:80
	;; [unrolled: 1-line block ×3, first 2 shown]
	v_mul_f32_e32 v41, v41, v7
	v_fmac_f32_e32 v41, v42, v6
	v_sub_f32_e32 v41, v37, v41
	v_fma_f32 v37, v37, 2.0, -v41
	s_waitcnt vmcnt(0) lgkmcnt(0)
	s_barrier
	v_mul_f32_e32 v42, v44, v29
	v_fma_f32 v42, v43, v28, -v42
	v_mul_f32_e32 v43, v43, v29
	v_fmac_f32_e32 v43, v44, v28
	v_mul_f32_e32 v44, v46, v31
	v_fma_f32 v44, v45, v30, -v44
	v_mul_f32_e32 v45, v45, v31
	v_fmac_f32_e32 v45, v46, v30
	;; [unrolled: 4-line block ×7, first 2 shown]
	v_sub_f32_e32 v56, v36, v78
	v_sub_f32_e32 v49, v64, v49
	;; [unrolled: 1-line block ×3, first 2 shown]
	v_fma_f32 v58, v64, 2.0, -v49
	v_sub_f32_e32 v44, v39, v44
	v_sub_f32_e32 v53, v71, v53
	;; [unrolled: 1-line block ×3, first 2 shown]
	v_fma_f32 v36, v36, 2.0, -v56
	v_fma_f32 v57, v63, 2.0, -v48
	v_sub_f32_e32 v45, v60, v45
	v_sub_f32_e32 v52, v70, v52
	v_fma_f32 v64, v71, 2.0, -v53
	v_sub_f32_e32 v42, v59, v42
	v_sub_f32_e32 v50, v65, v50
	;; [unrolled: 1-line block ×4, first 2 shown]
	v_add_f32_e32 v48, v41, v48
	v_fma_f32 v56, v56, 2.0, -v49
	v_sub_f32_e32 v53, v44, v53
	v_fma_f32 v39, v39, 2.0, -v44
	v_fma_f32 v60, v60, 2.0, -v45
	v_fma_f32 v63, v70, 2.0, -v52
	v_sub_f32_e32 v43, v38, v43
	v_fma_f32 v59, v59, 2.0, -v42
	v_sub_f32_e32 v51, v66, v51
	v_fma_f32 v65, v65, 2.0, -v50
	v_sub_f32_e32 v47, v62, v47
	v_fma_f32 v61, v61, 2.0, -v46
	v_sub_f32_e32 v55, v77, v55
	v_fma_f32 v70, v76, 2.0, -v54
	v_fma_f32 v41, v41, 2.0, -v48
	v_add_f32_e32 v52, v45, v52
	v_fma_f32 v44, v44, 2.0, -v53
	v_mov_b32_e32 v78, v56
	v_fma_f32 v38, v38, 2.0, -v43
	v_fma_f32 v66, v66, 2.0, -v51
	;; [unrolled: 1-line block ×4, first 2 shown]
	v_sub_f32_e32 v57, v36, v57
	v_sub_f32_e32 v58, v37, v58
	;; [unrolled: 1-line block ×4, first 2 shown]
	v_fma_f32 v45, v45, 2.0, -v52
	v_sub_f32_e32 v65, v59, v65
	v_sub_f32_e32 v70, v61, v70
	v_fmac_f32_e32 v78, 0xbf3504f3, v44
	v_mov_b32_e32 v79, v41
	v_fma_f32 v36, v36, 2.0, -v57
	v_fma_f32 v39, v39, 2.0, -v63
	;; [unrolled: 1-line block ×3, first 2 shown]
	v_sub_f32_e32 v66, v38, v66
	v_fma_f32 v59, v59, 2.0, -v65
	v_sub_f32_e32 v51, v42, v51
	v_add_f32_e32 v50, v43, v50
	v_sub_f32_e32 v71, v62, v71
	v_fma_f32 v61, v61, 2.0, -v70
	v_fmac_f32_e32 v79, 0xbf3504f3, v45
	v_fmac_f32_e32 v78, 0xbf3504f3, v45
	v_sub_f32_e32 v64, v57, v64
	v_add_f32_e32 v80, v58, v63
	v_fma_f32 v37, v37, 2.0, -v58
	v_fma_f32 v38, v38, 2.0, -v66
	;; [unrolled: 1-line block ×5, first 2 shown]
	v_sub_f32_e32 v55, v46, v55
	v_add_f32_e32 v54, v47, v54
	v_sub_f32_e32 v76, v36, v39
	v_fmac_f32_e32 v79, 0x3f3504f3, v44
	v_fma_f32 v44, v56, 2.0, -v78
	v_fma_f32 v56, v57, 2.0, -v64
	v_fma_f32 v57, v58, 2.0, -v80
	v_sub_f32_e32 v58, v59, v61
	v_fma_f32 v46, v46, 2.0, -v55
	v_fma_f32 v47, v47, 2.0, -v54
	;; [unrolled: 1-line block ×3, first 2 shown]
	v_sub_f32_e32 v61, v38, v62
	v_fma_f32 v36, v59, 2.0, -v58
	v_mov_b32_e32 v59, v42
	v_mov_b32_e32 v62, v43
	;; [unrolled: 1-line block ×3, first 2 shown]
	v_fmac_f32_e32 v59, 0xbf3504f3, v46
	v_fmac_f32_e32 v62, 0xbf3504f3, v47
	v_fma_f32 v45, v41, 2.0, -v79
	v_fmac_f32_e32 v82, 0x3f3504f3, v52
	v_fmac_f32_e32 v59, 0xbf3504f3, v47
	;; [unrolled: 1-line block ×3, first 2 shown]
	v_mov_b32_e32 v81, v49
	v_fmac_f32_e32 v82, 0x3f3504f3, v53
	v_fma_f32 v46, v42, 2.0, -v59
	v_fma_f32 v43, v43, 2.0, -v62
	v_sub_f32_e32 v63, v65, v71
	v_add_f32_e32 v70, v66, v70
	v_mov_b32_e32 v41, v44
	v_mov_b32_e32 v42, v45
	v_fmac_f32_e32 v81, 0x3f3504f3, v53
	v_fma_f32 v53, v48, 2.0, -v82
	v_fma_f32 v47, v65, 2.0, -v63
	;; [unrolled: 1-line block ×3, first 2 shown]
	v_mov_b32_e32 v65, v51
	v_mov_b32_e32 v66, v50
	v_fmac_f32_e32 v41, 0xbf6c835e, v46
	v_fmac_f32_e32 v42, 0xbf6c835e, v43
	;; [unrolled: 1-line block ×7, first 2 shown]
	v_mov_b32_e32 v46, v57
	v_fma_f32 v52, v49, 2.0, -v81
	v_fmac_f32_e32 v65, 0xbf3504f3, v54
	v_fmac_f32_e32 v66, 0x3f3504f3, v55
	v_fma_f32 v43, v44, 2.0, -v41
	v_fma_f32 v44, v45, 2.0, -v42
	v_mov_b32_e32 v45, v56
	v_fmac_f32_e32 v46, 0xbf3504f3, v48
	v_fma_f32 v51, v51, 2.0, -v65
	v_fma_f32 v54, v50, 2.0, -v66
	v_fmac_f32_e32 v45, 0xbf3504f3, v47
	v_fmac_f32_e32 v46, 0x3f3504f3, v47
	v_mov_b32_e32 v49, v52
	v_mov_b32_e32 v50, v53
	v_sub_f32_e32 v60, v37, v60
	v_fmac_f32_e32 v45, 0xbf3504f3, v48
	v_fma_f32 v48, v57, 2.0, -v46
	v_fmac_f32_e32 v49, 0xbec3ef15, v51
	v_fmac_f32_e32 v50, 0xbec3ef15, v54
	v_mov_b32_e32 v57, v78
	v_fmac_f32_e32 v49, 0xbf6c835e, v54
	v_fmac_f32_e32 v50, 0x3f6c835e, v51
	v_add_f32_e32 v54, v60, v58
	v_fmac_f32_e32 v57, 0x3ec3ef15, v59
	v_mov_b32_e32 v58, v79
	v_fma_f32 v77, v37, 2.0, -v60
	v_fma_f32 v37, v38, 2.0, -v61
	v_fma_f32 v51, v52, 2.0, -v49
	v_fma_f32 v52, v53, 2.0, -v50
	v_sub_f32_e32 v53, v76, v61
	v_fmac_f32_e32 v58, 0x3ec3ef15, v62
	v_fmac_f32_e32 v57, 0xbf6c835e, v62
	v_mov_b32_e32 v61, v64
	v_mov_b32_e32 v62, v80
	;; [unrolled: 1-line block ×4, first 2 shown]
	v_sub_f32_e32 v36, v39, v36
	v_sub_f32_e32 v37, v77, v37
	v_fmac_f32_e32 v61, 0x3f3504f3, v63
	v_fmac_f32_e32 v62, 0x3f3504f3, v70
	;; [unrolled: 1-line block ×4, first 2 shown]
	v_fma_f32 v38, v39, 2.0, -v36
	v_fma_f32 v39, v77, 2.0, -v37
	v_fmac_f32_e32 v58, 0x3f6c835e, v59
	v_fmac_f32_e32 v61, 0xbf3504f3, v70
	v_fmac_f32_e32 v62, 0x3f3504f3, v63
	v_fmac_f32_e32 v92, 0xbec3ef15, v66
	v_fmac_f32_e32 v93, 0x3ec3ef15, v65
	v_fma_f32 v47, v56, 2.0, -v45
	v_fma_f32 v55, v76, 2.0, -v53
	;; [unrolled: 1-line block ×9, first 2 shown]
	ds_write2_b64 v154, v[38:39], v[43:44] offset1:10
	ds_write2_b64 v154, v[47:48], v[51:52] offset0:20 offset1:30
	ds_write2_b64 v154, v[55:56], v[59:60] offset0:40 offset1:50
	;; [unrolled: 1-line block ×7, first 2 shown]
	v_add_u32_e32 v36, 0x1c00, v149
	s_waitcnt lgkmcnt(0)
	s_barrier
	ds_read2_b64 v[68:71], v149 offset1:90
	ds_read2_b64 v[60:63], v72 offset0:104 offset1:224
	ds_read2_b64 v[80:83], v36 offset0:64 offset1:154
	;; [unrolled: 1-line block ×6, first 2 shown]
	ds_read_b64 v[88:89], v149 offset:10560
	s_and_saveexec_b64 s[4:5], s[2:3]
	s_cbranch_execz .LBB0_9
; %bb.8:
	ds_read_b64 v[92:93], v149 offset:3600
	ds_read_b64 v[32:33], v149 offset:7440
	ds_read_b64 v[34:35], v149 offset:11280
.LBB0_9:
	s_or_b64 exec, exec, s[4:5]
	v_lshlrev_b64 v[36:37], 4, v[122:123]
	v_mov_b32_e32 v57, s19
	v_add_co_u32_e64 v145, s[8:9], s18, v36
	v_addc_co_u32_e64 v146, s[8:9], v57, v37, s[8:9]
	s_movk_i32 s8, 0xffba
	v_add_co_u32_e64 v41, s[8:9], s8, v122
	v_addc_co_u32_e64 v42, s[8:9], 0, -1, s[8:9]
	s_movk_i32 s8, 0x46
	v_add_co_u32_e32 v143, vcc, 0x10e, v122
	v_cmp_gt_u16_e64 s[8:9], s8, v122
	s_mov_b32 s20, 0xcccd
	v_cndmask_b32_e64 v91, v42, v40, s[8:9]
	v_cndmask_b32_e64 v90, v41, v158, s[8:9]
	v_mul_u32_u24_sdwa v48, v143, s20 dst_sel:DWORD dst_unused:UNUSED_PAD src0_sel:WORD_0 src1_sel:DWORD
	s_mov_b64 s[4:5], vcc
	v_add_co_u32_e32 v114, vcc, 0x168, v122
	v_lshlrev_b64 v[44:45], 4, v[90:91]
	v_lshrrev_b32_e32 v91, 23, v48
	v_mul_lo_u16_e32 v48, 0xa0, v91
	v_mul_u32_u24_sdwa v52, v114, s20 dst_sel:DWORD dst_unused:UNUSED_PAD src0_sel:WORD_0 src1_sel:DWORD
	s_mov_b64 s[6:7], vcc
	v_add_co_u32_e32 v159, vcc, 0x1c2, v122
	v_add_co_u32_e64 v44, s[8:9], s18, v44
	v_sub_u16_e32 v94, v143, v48
	v_lshrrev_b32_e32 v52, 23, v52
	global_load_dwordx4 v[36:39], v[145:146], off offset:1200
	global_load_dwordx4 v[40:43], v[145:146], off offset:1520
	v_addc_co_u32_e64 v45, s[8:9], v57, v45, s[8:9]
	v_lshlrev_b16_e32 v48, 4, v94
	v_mul_lo_u16_e32 v52, 0xa0, v52
	v_mul_u32_u24_sdwa v56, v159, s20 dst_sel:DWORD dst_unused:UNUSED_PAD src0_sel:WORD_0 src1_sel:DWORD
	global_load_dwordx4 v[44:47], v[44:45], off offset:1200
	v_add_co_u32_e64 v48, s[8:9], s18, v48
	v_sub_u16_e32 v95, v114, v52
	v_lshrrev_b32_e32 v56, 23, v56
	v_addc_co_u32_e64 v49, s[8:9], 0, v57, s[8:9]
	global_load_dwordx4 v[48:51], v[48:49], off offset:1200
	v_lshlrev_b16_e32 v52, 4, v95
	v_mul_lo_u16_e32 v56, 0xa0, v56
	v_add_co_u32_e64 v52, s[8:9], s18, v52
	v_sub_u16_e32 v96, v159, v56
	v_addc_co_u32_e64 v53, s[8:9], 0, v57, s[8:9]
	v_lshlrev_b16_e32 v56, 4, v96
	global_load_dwordx4 v[52:55], v[52:53], off offset:1200
	v_add_co_u32_e64 v56, s[8:9], s18, v56
	v_addc_co_u32_e64 v57, s[8:9], 0, v57, s[8:9]
	global_load_dwordx4 v[56:59], v[56:57], off offset:1200
	v_addc_co_u32_e64 v144, s[4:5], 0, 0, s[4:5]
	v_addc_co_u32_e64 v115, s[4:5], 0, 0, s[6:7]
	v_addc_co_u32_e64 v160, s[4:5], 0, 0, vcc
	s_movk_i32 s4, 0x45
	s_waitcnt vmcnt(0) lgkmcnt(0)
	s_barrier
	v_cmp_lt_u16_e32 vcc, s4, v122
	s_movk_i32 s5, 0x1e0
	v_lshlrev_b32_e32 v157, 3, v95
	v_lshlrev_b32_e32 v123, 3, v96
	v_mul_f32_e32 v97, v63, v37
	v_mul_f32_e32 v98, v62, v37
	;; [unrolled: 1-line block ×4, first 2 shown]
	v_fma_f32 v97, v62, v36, -v97
	v_mul_f32_e32 v101, v87, v41
	v_fmac_f32_e32 v98, v63, v36
	v_mul_f32_e32 v62, v85, v45
	v_fma_f32 v63, v80, v38, -v99
	v_fmac_f32_e32 v100, v81, v38
	v_mul_f32_e32 v81, v84, v45
	v_mul_f32_e32 v99, v82, v47
	v_fma_f32 v84, v84, v44, -v62
	v_mul_f32_e32 v62, v77, v43
	v_mul_f32_e32 v102, v86, v41
	v_fma_f32 v80, v86, v40, -v101
	v_mul_f32_e32 v86, v83, v47
	v_fmac_f32_e32 v99, v83, v46
	v_fma_f32 v83, v76, v42, -v62
	v_mul_f32_e32 v62, v73, v49
	v_fma_f32 v82, v82, v46, -v86
	v_fma_f32 v86, v72, v48, -v62
	v_mul_f32_e32 v62, v79, v51
	v_fma_f32 v101, v78, v50, -v62
	v_mul_f32_e32 v62, v75, v53
	;; [unrolled: 2-line block ×4, first 2 shown]
	v_mul_f32_e32 v109, v32, v57
	v_fma_f32 v108, v32, v56, -v62
	v_fmac_f32_e32 v109, v33, v56
	v_mul_f32_e32 v32, v35, v59
	v_mul_f32_e32 v111, v34, v59
	v_add_f32_e32 v33, v97, v63
	v_fma_f32 v110, v34, v58, -v32
	v_fmac_f32_e32 v111, v35, v58
	v_fma_f32 v34, -0.5, v33, v68
	v_add_f32_e32 v35, v98, v100
	v_add_f32_e32 v32, v68, v97
	v_sub_f32_e32 v33, v98, v100
	v_mov_b32_e32 v62, v34
	v_fma_f32 v35, -0.5, v35, v69
	v_add_f32_e32 v32, v32, v63
	v_fmac_f32_e32 v62, 0x3f5db3d7, v33
	v_fmac_f32_e32 v34, 0xbf5db3d7, v33
	v_add_f32_e32 v33, v69, v98
	v_sub_f32_e32 v68, v97, v63
	v_mov_b32_e32 v63, v35
	v_add_f32_e32 v69, v84, v82
	v_fmac_f32_e32 v81, v85, v44
	v_fmac_f32_e32 v102, v87, v40
	v_mul_f32_e32 v87, v72, v49
	v_fmac_f32_e32 v63, 0xbf5db3d7, v68
	v_fmac_f32_e32 v35, 0x3f5db3d7, v68
	v_add_f32_e32 v68, v70, v84
	v_fma_f32 v70, -0.5, v69, v70
	v_fmac_f32_e32 v87, v73, v48
	v_sub_f32_e32 v69, v81, v99
	v_mov_b32_e32 v72, v70
	v_add_f32_e32 v73, v81, v99
	v_mul_f32_e32 v105, v74, v53
	v_fmac_f32_e32 v72, 0x3f5db3d7, v69
	v_fmac_f32_e32 v70, 0xbf5db3d7, v69
	v_add_f32_e32 v69, v71, v81
	v_fmac_f32_e32 v71, -0.5, v73
	v_mul_f32_e32 v85, v76, v43
	v_fmac_f32_e32 v105, v75, v52
	v_sub_f32_e32 v74, v84, v82
	v_mov_b32_e32 v73, v71
	v_add_f32_e32 v75, v80, v83
	v_fmac_f32_e32 v85, v77, v42
	v_fmac_f32_e32 v73, 0xbf5db3d7, v74
	;; [unrolled: 1-line block ×3, first 2 shown]
	v_add_f32_e32 v74, v64, v80
	v_fma_f32 v64, -0.5, v75, v64
	v_sub_f32_e32 v75, v102, v85
	v_mov_b32_e32 v76, v64
	v_add_f32_e32 v77, v102, v85
	v_mul_f32_e32 v103, v78, v51
	v_fmac_f32_e32 v76, 0x3f5db3d7, v75
	v_fmac_f32_e32 v64, 0xbf5db3d7, v75
	v_add_f32_e32 v75, v65, v102
	v_fma_f32 v65, -0.5, v77, v65
	v_fmac_f32_e32 v103, v79, v50
	v_sub_f32_e32 v78, v80, v83
	v_mov_b32_e32 v77, v65
	v_add_f32_e32 v79, v86, v101
	v_fmac_f32_e32 v77, 0xbf5db3d7, v78
	v_fmac_f32_e32 v65, 0x3f5db3d7, v78
	v_add_f32_e32 v78, v66, v86
	v_fma_f32 v66, -0.5, v79, v66
	v_sub_f32_e32 v79, v87, v103
	v_mov_b32_e32 v84, v66
	v_add_f32_e32 v80, v87, v103
	v_fmac_f32_e32 v84, 0x3f5db3d7, v79
	v_fmac_f32_e32 v66, 0xbf5db3d7, v79
	v_add_f32_e32 v79, v67, v87
	v_fmac_f32_e32 v67, -0.5, v80
	v_add_f32_e32 v75, v75, v85
	v_sub_f32_e32 v80, v86, v101
	v_mov_b32_e32 v85, v67
	v_fmac_f32_e32 v85, 0xbf5db3d7, v80
	v_fmac_f32_e32 v67, 0x3f5db3d7, v80
	v_add_f32_e32 v80, v60, v104
	v_mul_f32_e32 v107, v88, v55
	v_add_f32_e32 v86, v80, v106
	v_add_f32_e32 v80, v104, v106
	v_fmac_f32_e32 v107, v89, v54
	v_fma_f32 v60, -0.5, v80, v60
	v_sub_f32_e32 v80, v105, v107
	v_mov_b32_e32 v88, v60
	v_fmac_f32_e32 v88, 0x3f5db3d7, v80
	v_fmac_f32_e32 v60, 0xbf5db3d7, v80
	v_add_f32_e32 v80, v61, v105
	v_add_f32_e32 v87, v80, v107
	;; [unrolled: 1-line block ×3, first 2 shown]
	v_fmac_f32_e32 v61, -0.5, v80
	v_sub_f32_e32 v80, v104, v106
	v_mov_b32_e32 v89, v61
	v_fmac_f32_e32 v89, 0xbf5db3d7, v80
	v_fmac_f32_e32 v61, 0x3f5db3d7, v80
	v_add_f32_e32 v80, v92, v108
	v_add_f32_e32 v68, v68, v82
	;; [unrolled: 1-line block ×4, first 2 shown]
	v_fmac_f32_e32 v92, -0.5, v80
	v_add_f32_e32 v33, v33, v100
	v_sub_f32_e32 v81, v109, v111
	v_mov_b32_e32 v80, v92
	v_fmac_f32_e32 v80, 0x3f5db3d7, v81
	v_fmac_f32_e32 v92, 0xbf5db3d7, v81
	v_add_f32_e32 v81, v93, v109
	ds_write2_b64 v149, v[32:33], v[62:63] offset1:160
	ds_write_b64 v149, v[34:35] offset:2560
	v_mov_b32_e32 v32, 0x1e0
	v_add_f32_e32 v74, v74, v83
	v_add_f32_e32 v83, v81, v111
	;; [unrolled: 1-line block ×3, first 2 shown]
	v_cndmask_b32_e32 v32, 0, v32, vcc
	v_add_f32_e32 v69, v69, v99
	v_fmac_f32_e32 v93, -0.5, v81
	v_add_lshl_u32 v155, v90, v32, 3
	v_add_u32_e32 v32, 0xe00, v149
	v_sub_f32_e32 v97, v108, v110
	v_mov_b32_e32 v81, v93
	ds_write2_b64 v155, v[68:69], v[72:73] offset1:160
	ds_write_b64 v155, v[70:71] offset:2560
	ds_write2_b64 v32, v[74:75], v[76:77] offset0:52 offset1:212
	ds_write_b64 v149, v[64:65] offset:6560
	v_mad_legacy_u16 v32, v91, s5, v94
	v_add_f32_e32 v78, v78, v101
	v_add_f32_e32 v79, v79, v103
	v_fmac_f32_e32 v81, 0xbf5db3d7, v97
	v_fmac_f32_e32 v93, 0x3f5db3d7, v97
	v_lshlrev_b32_e32 v156, 3, v32
	v_add_u32_e32 v32, 0x1c00, v157
	ds_write2_b64 v156, v[78:79], v[84:85] offset1:160
	ds_write_b64 v156, v[66:67] offset:2560
	ds_write2_b64 v32, v[86:87], v[88:89] offset0:64 offset1:224
	ds_write_b64 v157, v[60:61] offset:10240
	s_and_saveexec_b64 s[4:5], s[2:3]
	s_cbranch_execz .LBB0_11
; %bb.10:
	v_add_u32_e32 v32, 0x1c00, v123
	ds_write2_b64 v32, v[82:83], v[80:81] offset0:64 offset1:224
	ds_write_b64 v123, v[92:93] offset:10240
.LBB0_11:
	s_or_b64 exec, exec, s[4:5]
	v_add_u32_e32 v32, 0x800, v149
	s_waitcnt lgkmcnt(0)
	s_barrier
	ds_read2_b64 v[88:91], v32 offset0:104 offset1:224
	v_add_u32_e32 v32, 0x1c00, v149
	v_add_u32_e32 v164, 0x1000, v149
	v_add_u32_e32 v163, 0x400, v149
	v_add_u32_e32 v162, 0x2000, v149
	v_add_u32_e32 v161, 0x1400, v149
	ds_read2_b64 v[94:97], v149 offset1:90
	ds_read2_b64 v[110:113], v32 offset0:64 offset1:154
	ds_read2_b64 v[106:109], v164 offset0:58 offset1:148
	;; [unrolled: 1-line block ×5, first 2 shown]
	ds_read_b64 v[147:148], v149 offset:10560
	s_and_saveexec_b64 s[4:5], s[2:3]
	s_cbranch_execz .LBB0_13
; %bb.12:
	ds_read_b64 v[82:83], v149 offset:3600
	ds_read_b64 v[80:81], v149 offset:7440
	;; [unrolled: 1-line block ×3, first 2 shown]
.LBB0_13:
	s_or_b64 exec, exec, s[4:5]
	v_lshlrev_b32_e32 v32, 4, v158
	global_load_dwordx4 v[60:63], v[145:146], off offset:3760
	global_load_dwordx4 v[64:67], v32, s[18:19] offset:3760
	v_mov_b32_e32 v32, 0xb40
	v_lshl_add_u32 v32, v122, 4, v32
	global_load_dwordx4 v[68:71], v32, s[18:19] offset:3760
	v_lshlrev_b64 v[32:33], 4, v[143:144]
	v_mov_b32_e32 v143, s19
	v_lshlrev_b64 v[34:35], 4, v[114:115]
	v_add_co_u32_e32 v32, vcc, s18, v32
	v_addc_co_u32_e32 v33, vcc, v143, v33, vcc
	global_load_dwordx4 v[76:79], v[32:33], off offset:3760
	v_add_co_u32_e32 v32, vcc, s18, v34
	v_addc_co_u32_e32 v33, vcc, v143, v35, vcc
	s_movk_i32 s4, 0xffe2
	global_load_dwordx4 v[72:75], v[32:33], off offset:3760
	v_add_co_u32_e32 v32, vcc, s4, v122
	v_addc_co_u32_e64 v33, s[4:5], 0, -1, vcc
	v_cndmask_b32_e64 v33, v33, v160, s[2:3]
	v_cndmask_b32_e64 v32, v32, v159, s[2:3]
	v_lshlrev_b64 v[32:33], 4, v[32:33]
	v_add_co_u32_e32 v32, vcc, s18, v32
	v_addc_co_u32_e32 v33, vcc, v143, v33, vcc
	global_load_dwordx4 v[32:35], v[32:33], off offset:3760
	s_waitcnt vmcnt(5) lgkmcnt(7)
	v_mul_f32_e32 v114, v91, v61
	v_mul_f32_e32 v115, v90, v61
	s_waitcnt lgkmcnt(5)
	v_mul_f32_e32 v143, v111, v63
	v_mul_f32_e32 v144, v110, v63
	v_fma_f32 v90, v90, v60, -v114
	s_waitcnt vmcnt(4)
	v_mul_f32_e32 v114, v113, v67
	v_fmac_f32_e32 v115, v91, v60
	v_fma_f32 v91, v110, v62, -v143
	v_fmac_f32_e32 v144, v111, v62
	s_waitcnt lgkmcnt(4)
	v_mul_f32_e32 v110, v107, v65
	v_mul_f32_e32 v111, v106, v65
	;; [unrolled: 1-line block ×3, first 2 shown]
	v_fma_f32 v112, v112, v66, -v114
	s_waitcnt vmcnt(3) lgkmcnt(2)
	v_mul_f32_e32 v114, v98, v71
	v_fma_f32 v110, v106, v64, -v110
	v_fmac_f32_e32 v111, v107, v64
	v_mul_f32_e32 v106, v109, v69
	v_mul_f32_e32 v107, v99, v71
	v_add_f32_e32 v146, v90, v91
	v_fmac_f32_e32 v114, v99, v70
	s_waitcnt vmcnt(2) lgkmcnt(1)
	v_mul_f32_e32 v99, v103, v77
	v_fmac_f32_e32 v143, v113, v66
	v_mul_f32_e32 v113, v108, v69
	v_add_f32_e32 v145, v94, v90
	v_fma_f32 v159, v108, v68, -v106
	s_waitcnt vmcnt(1) lgkmcnt(0)
	v_mul_f32_e32 v168, v147, v75
	v_fma_f32 v106, -0.5, v146, v94
	v_fma_f32 v94, v102, v76, -v99
	v_fmac_f32_e32 v113, v109, v68
	v_mul_f32_e32 v109, v148, v75
	v_fmac_f32_e32 v168, v148, v74
	s_waitcnt vmcnt(0)
	v_mul_f32_e32 v99, v81, v33
	v_mul_f32_e32 v148, v80, v33
	v_fma_f32 v169, v80, v32, -v99
	v_add_f32_e32 v80, v95, v115
	v_fma_f32 v160, v98, v70, -v107
	v_mul_f32_e32 v107, v101, v79
	v_mul_f32_e32 v166, v100, v79
	v_add_f32_e32 v99, v80, v144
	v_add_f32_e32 v80, v115, v144
	;; [unrolled: 1-line block ×3, first 2 shown]
	v_fma_f32 v145, v100, v78, -v107
	v_fmac_f32_e32 v166, v101, v78
	v_mul_f32_e32 v101, v93, v35
	v_fma_f32 v107, -0.5, v80, v95
	v_fmac_f32_e32 v148, v81, v32
	v_fma_f32 v81, v92, v34, -v101
	v_sub_f32_e32 v80, v90, v91
	v_mov_b32_e32 v101, v107
	v_fmac_f32_e32 v101, 0xbf5db3d7, v80
	v_fmac_f32_e32 v107, 0x3f5db3d7, v80
	v_add_f32_e32 v80, v96, v110
	v_mul_f32_e32 v165, v102, v77
	v_add_f32_e32 v102, v80, v112
	v_add_f32_e32 v80, v110, v112
	v_mul_f32_e32 v108, v105, v73
	v_fma_f32 v96, -0.5, v80, v96
	v_mul_f32_e32 v167, v104, v73
	v_fma_f32 v146, v104, v72, -v108
	v_sub_f32_e32 v80, v111, v143
	v_mov_b32_e32 v104, v96
	v_fmac_f32_e32 v104, 0x3f5db3d7, v80
	v_fmac_f32_e32 v96, 0xbf5db3d7, v80
	v_add_f32_e32 v80, v97, v111
	v_fmac_f32_e32 v165, v103, v76
	v_add_f32_e32 v103, v80, v143
	v_add_f32_e32 v80, v111, v143
	v_fmac_f32_e32 v97, -0.5, v80
	v_fmac_f32_e32 v167, v105, v72
	v_sub_f32_e32 v80, v110, v112
	v_mov_b32_e32 v105, v97
	v_fmac_f32_e32 v105, 0xbf5db3d7, v80
	v_fmac_f32_e32 v97, 0x3f5db3d7, v80
	v_add_f32_e32 v80, v84, v159
	v_add_f32_e32 v108, v80, v160
	;; [unrolled: 1-line block ×3, first 2 shown]
	v_fma_f32 v110, -0.5, v80, v84
	v_sub_f32_e32 v80, v113, v114
	v_mov_b32_e32 v112, v110
	v_fmac_f32_e32 v112, 0x3f5db3d7, v80
	v_fmac_f32_e32 v110, 0xbf5db3d7, v80
	v_add_f32_e32 v80, v85, v113
	v_fma_f32 v147, v147, v74, -v109
	v_add_f32_e32 v109, v80, v114
	v_add_f32_e32 v80, v113, v114
	v_fma_f32 v111, -0.5, v80, v85
	v_sub_f32_e32 v80, v159, v160
	v_mov_b32_e32 v113, v111
	v_fmac_f32_e32 v113, 0xbf5db3d7, v80
	v_fmac_f32_e32 v111, 0x3f5db3d7, v80
	v_add_f32_e32 v80, v86, v94
	v_add_f32_e32 v114, v80, v145
	;; [unrolled: 1-line block ×3, first 2 shown]
	v_fma_f32 v86, -0.5, v80, v86
	v_sub_f32_e32 v80, v165, v166
	v_mov_b32_e32 v84, v86
	v_fmac_f32_e32 v84, 0x3f5db3d7, v80
	v_fmac_f32_e32 v86, 0xbf5db3d7, v80
	v_add_f32_e32 v80, v87, v165
	v_sub_f32_e32 v158, v115, v144
	v_add_f32_e32 v115, v80, v166
	v_add_f32_e32 v80, v165, v166
	v_fmac_f32_e32 v87, -0.5, v80
	v_sub_f32_e32 v80, v94, v145
	v_mov_b32_e32 v85, v87
	v_mov_b32_e32 v100, v106
	v_fmac_f32_e32 v85, 0xbf5db3d7, v80
	v_fmac_f32_e32 v87, 0x3f5db3d7, v80
	v_add_f32_e32 v80, v88, v146
	v_fmac_f32_e32 v106, 0xbf5db3d7, v158
	v_fmac_f32_e32 v100, 0x3f5db3d7, v158
	v_mul_f32_e32 v158, v92, v35
	v_add_f32_e32 v92, v80, v147
	v_add_f32_e32 v80, v146, v147
	v_fma_f32 v88, -0.5, v80, v88
	v_sub_f32_e32 v80, v167, v168
	v_mov_b32_e32 v94, v88
	v_fmac_f32_e32 v94, 0x3f5db3d7, v80
	v_fmac_f32_e32 v88, 0xbf5db3d7, v80
	v_add_f32_e32 v80, v89, v167
	v_fmac_f32_e32 v158, v93, v34
	v_add_f32_e32 v93, v80, v168
	v_add_f32_e32 v80, v167, v168
	v_fmac_f32_e32 v89, -0.5, v80
	v_sub_f32_e32 v80, v146, v147
	v_mov_b32_e32 v95, v89
	v_fmac_f32_e32 v95, 0xbf5db3d7, v80
	v_fmac_f32_e32 v89, 0x3f5db3d7, v80
	v_add_f32_e32 v80, v82, v169
	v_add_f32_e32 v90, v80, v81
	;; [unrolled: 1-line block ×3, first 2 shown]
	v_fmac_f32_e32 v82, -0.5, v80
	v_sub_f32_e32 v91, v148, v158
	v_mov_b32_e32 v80, v82
	v_add_f32_e32 v143, v148, v158
	v_fmac_f32_e32 v80, 0x3f5db3d7, v91
	v_fmac_f32_e32 v82, 0xbf5db3d7, v91
	v_add_f32_e32 v91, v83, v148
	v_fmac_f32_e32 v83, -0.5, v143
	v_sub_f32_e32 v143, v169, v81
	v_mov_b32_e32 v81, v83
	v_add_f32_e32 v91, v91, v158
	v_fmac_f32_e32 v81, 0xbf5db3d7, v143
	v_fmac_f32_e32 v83, 0x3f5db3d7, v143
	ds_write_b64 v149, v[100:101] offset:3840
	ds_write_b64 v149, v[106:107] offset:7680
	ds_write2_b64 v149, v[98:99], v[102:103] offset1:90
	ds_write_b64 v149, v[96:97] offset:8400
	ds_write2_b64 v164, v[104:105], v[112:113] offset0:58 offset1:148
	ds_write2_b64 v163, v[108:109], v[114:115] offset0:52 offset1:142
	;; [unrolled: 1-line block ×3, first 2 shown]
	ds_write_b64 v149, v[92:93] offset:2880
	ds_write2_b64 v161, v[84:85], v[94:95] offset0:110 offset1:200
	ds_write_b64 v149, v[88:89] offset:10560
	s_and_saveexec_b64 s[4:5], s[2:3]
	s_cbranch_execz .LBB0_15
; %bb.14:
	ds_write_b64 v149, v[90:91] offset:3600
	ds_write_b64 v149, v[80:81] offset:7440
	;; [unrolled: 1-line block ×3, first 2 shown]
.LBB0_15:
	s_or_b64 exec, exec, s[4:5]
	s_add_u32 s4, s16, 0x2d00
	s_addc_u32 s5, s17, 0
	v_lshlrev_b32_e32 v96, 3, v122
	s_waitcnt lgkmcnt(0)
	s_barrier
	global_load_dwordx2 v[101:102], v96, s[4:5]
	global_load_dwordx2 v[105:106], v96, s[4:5] offset:1152
	v_mov_b32_e32 v97, s5
	global_load_dwordx2 v[109:110], v96, s[4:5] offset:2304
	global_load_dwordx2 v[113:114], v96, s[4:5] offset:3456
	v_add_co_u32_e32 v96, vcc, s4, v96
	s_movk_i32 s6, 0x1000
	v_addc_co_u32_e32 v97, vcc, 0, v97, vcc
	v_add_co_u32_e32 v98, vcc, s6, v96
	v_addc_co_u32_e32 v99, vcc, 0, v97, vcc
	v_add_co_u32_e32 v103, vcc, 0x2000, v96
	v_addc_co_u32_e32 v104, vcc, 0, v97, vcc
	global_load_dwordx2 v[147:148], v[98:99], off offset:512
	global_load_dwordx2 v[170:171], v151, s[4:5]
	global_load_dwordx2 v[172:173], v[98:99], off offset:1664
	global_load_dwordx2 v[174:175], v[98:99], off offset:2816
	global_load_dwordx2 v[176:177], v[98:99], off offset:3968
	global_load_dwordx2 v[178:179], v[103:104], off offset:2176
	ds_read2_b64 v[143:146], v149 offset1:144
	v_add_u32_e32 v100, 0x800, v149
	v_add_u32_e32 v104, 0x1000, v149
	;; [unrolled: 1-line block ×4, first 2 shown]
	s_movk_i32 s6, 0x2000
	s_waitcnt vmcnt(9) lgkmcnt(0)
	v_mul_f32_e32 v111, v144, v102
	v_mul_f32_e32 v103, v143, v102
	s_waitcnt vmcnt(8)
	v_mul_f32_e32 v115, v146, v106
	v_mul_f32_e32 v107, v145, v106
	v_fma_f32 v102, v143, v101, -v111
	v_fmac_f32_e32 v103, v144, v101
	v_fma_f32 v106, v145, v105, -v115
	v_fmac_f32_e32 v107, v146, v105
	ds_write2_b64 v149, v[102:103], v[106:107] offset1:144
	ds_read2_b64 v[143:146], v100 offset0:32 offset1:176
	ds_read2_b64 v[158:161], v104 offset0:64 offset1:208
	;; [unrolled: 1-line block ×3, first 2 shown]
	ds_read2_b64 v[166:169], v112 offset1:144
	s_waitcnt vmcnt(7) lgkmcnt(3)
	v_mul_f32_e32 v101, v144, v110
	v_mul_f32_e32 v102, v143, v110
	s_waitcnt vmcnt(6)
	v_mul_f32_e32 v103, v146, v114
	v_mul_f32_e32 v106, v145, v114
	s_waitcnt vmcnt(5) lgkmcnt(2)
	v_mul_f32_e32 v107, v159, v148
	v_mul_f32_e32 v110, v158, v148
	s_waitcnt vmcnt(3)
	v_mul_f32_e32 v111, v161, v173
	v_mul_f32_e32 v114, v160, v173
	;; [unrolled: 6-line block ×3, first 2 shown]
	s_waitcnt lgkmcnt(0)
	v_mul_f32_e32 v177, v167, v171
	v_mul_f32_e32 v175, v166, v171
	s_waitcnt vmcnt(0)
	v_mul_f32_e32 v180, v169, v179
	v_mul_f32_e32 v171, v168, v179
	v_fma_f32 v101, v143, v109, -v101
	v_fmac_f32_e32 v102, v144, v109
	v_fma_f32 v105, v145, v113, -v103
	v_fmac_f32_e32 v106, v146, v113
	;; [unrolled: 2-line block ×8, first 2 shown]
	ds_write2_b64 v100, v[101:102], v[105:106] offset0:32 offset1:176
	ds_write2_b64 v104, v[109:110], v[113:114] offset0:64 offset1:208
	;; [unrolled: 1-line block ×3, first 2 shown]
	ds_write2_b64 v112, v[174:175], v[170:171] offset1:144
	s_and_saveexec_b64 s[4:5], s[0:1]
	s_cbranch_execz .LBB0_17
; %bb.16:
	global_load_dwordx2 v[101:102], v[96:97], off offset:720
	global_load_dwordx2 v[105:106], v[96:97], off offset:1872
	;; [unrolled: 1-line block ×7, first 2 shown]
	v_add_co_u32_e32 v96, vcc, s6, v96
	v_addc_co_u32_e32 v97, vcc, 0, v97, vcc
	global_load_dwordx2 v[174:175], v[96:97], off offset:592
	global_load_dwordx2 v[176:177], v[96:97], off offset:1744
	;; [unrolled: 1-line block ×3, first 2 shown]
	ds_read2_b64 v[96:99], v149 offset0:90 offset1:234
	v_add_u32_e32 v151, 0xa00, v149
	v_add_u32_e32 v182, 0x1400, v149
	;; [unrolled: 1-line block ×3, first 2 shown]
	ds_read2_b64 v[143:146], v112 offset0:90 offset1:234
	ds_read2_b64 v[158:161], v151 offset0:58 offset1:202
	ds_read2_b64 v[162:165], v182 offset0:26 offset1:170
	ds_read2_b64 v[166:169], v183 offset0:58 offset1:202
	s_waitcnt vmcnt(9) lgkmcnt(4)
	v_mul_f32_e32 v180, v97, v102
	v_mul_f32_e32 v103, v96, v102
	s_waitcnt vmcnt(8)
	v_mul_f32_e32 v184, v99, v106
	v_mul_f32_e32 v107, v98, v106
	s_waitcnt vmcnt(7) lgkmcnt(2)
	v_mul_f32_e32 v111, v158, v110
	s_waitcnt vmcnt(5) lgkmcnt(1)
	v_mul_f32_e32 v187, v163, v148
	v_mul_f32_e32 v181, v162, v148
	s_waitcnt vmcnt(4)
	v_mul_f32_e32 v188, v165, v171
	v_mul_f32_e32 v148, v164, v171
	s_waitcnt vmcnt(3) lgkmcnt(0)
	v_mul_f32_e32 v189, v167, v173
	v_mul_f32_e32 v171, v166, v173
	v_fma_f32 v102, v96, v101, -v180
	v_fmac_f32_e32 v103, v97, v101
	s_waitcnt vmcnt(2)
	v_mul_f32_e32 v96, v169, v175
	v_mul_f32_e32 v97, v168, v175
	;; [unrolled: 1-line block ×5, first 2 shown]
	v_fma_f32 v106, v98, v105, -v184
	v_fmac_f32_e32 v107, v99, v105
	v_fmac_f32_e32 v111, v159, v109
	v_fma_f32 v180, v162, v147, -v187
	v_fmac_f32_e32 v181, v163, v147
	v_fma_f32 v147, v164, v170, -v188
	;; [unrolled: 2-line block ×3, first 2 shown]
	v_fmac_f32_e32 v171, v167, v172
	s_waitcnt vmcnt(1)
	v_mul_f32_e32 v98, v144, v177
	v_mul_f32_e32 v99, v143, v177
	s_waitcnt vmcnt(0)
	v_mul_f32_e32 v101, v146, v179
	v_mul_f32_e32 v159, v145, v179
	v_fma_f32 v96, v168, v174, -v96
	v_fmac_f32_e32 v97, v169, v174
	v_fma_f32 v110, v158, v109, -v185
	v_fma_f32 v114, v160, v113, -v186
	v_fmac_f32_e32 v115, v161, v113
	ds_write2_b64 v149, v[102:103], v[106:107] offset0:90 offset1:234
	ds_write2_b64 v151, v[110:111], v[114:115] offset0:58 offset1:202
	;; [unrolled: 1-line block ×3, first 2 shown]
	v_fma_f32 v98, v143, v176, -v98
	v_fmac_f32_e32 v99, v144, v176
	v_fma_f32 v158, v145, v178, -v101
	v_fmac_f32_e32 v159, v146, v178
	ds_write2_b64 v183, v[170:171], v[96:97] offset0:58 offset1:202
	ds_write2_b64 v112, v[98:99], v[158:159] offset0:90 offset1:234
.LBB0_17:
	s_or_b64 exec, exec, s[4:5]
	s_waitcnt lgkmcnt(0)
	s_barrier
	ds_read2_b64 v[96:99], v149 offset1:144
	ds_read2_b64 v[100:103], v100 offset0:32 offset1:176
	ds_read2_b64 v[104:107], v104 offset0:64 offset1:208
	;; [unrolled: 1-line block ×3, first 2 shown]
	ds_read2_b64 v[112:115], v112 offset1:144
	s_and_saveexec_b64 s[4:5], s[0:1]
	s_cbranch_execz .LBB0_19
; %bb.18:
	v_add_u32_e32 v0, 0xa00, v149
	ds_read2_b64 v[92:95], v0 offset0:58 offset1:202
	v_add_u32_e32 v0, 0x1400, v149
	ds_read2_b64 v[88:91], v0 offset0:26 offset1:170
	;; [unrolled: 2-line block ×4, first 2 shown]
	ds_read2_b64 v[0:3], v0 offset0:90 offset1:234
.LBB0_19:
	s_or_b64 exec, exec, s[4:5]
	s_waitcnt lgkmcnt(1)
	v_add_f32_e32 v144, v104, v108
	v_fma_f32 v144, -0.5, v144, v96
	s_waitcnt lgkmcnt(0)
	v_sub_f32_e32 v145, v101, v113
	v_mov_b32_e32 v146, v144
	v_fmac_f32_e32 v146, 0xbf737871, v145
	v_sub_f32_e32 v147, v105, v109
	v_sub_f32_e32 v148, v100, v104
	;; [unrolled: 1-line block ×3, first 2 shown]
	v_fmac_f32_e32 v144, 0x3f737871, v145
	v_fmac_f32_e32 v146, 0xbf167918, v147
	v_add_f32_e32 v148, v148, v151
	v_fmac_f32_e32 v144, 0x3f167918, v147
	v_fmac_f32_e32 v146, 0x3e9e377a, v148
	;; [unrolled: 1-line block ×3, first 2 shown]
	v_add_f32_e32 v148, v100, v112
	v_add_f32_e32 v143, v96, v100
	v_fma_f32 v96, -0.5, v148, v96
	v_mov_b32_e32 v148, v96
	v_add_f32_e32 v143, v143, v104
	v_fmac_f32_e32 v148, 0x3f737871, v147
	v_fmac_f32_e32 v96, 0xbf737871, v147
	v_add_f32_e32 v147, v105, v109
	v_add_f32_e32 v143, v143, v108
	v_sub_f32_e32 v151, v104, v100
	v_sub_f32_e32 v158, v108, v112
	v_fma_f32 v147, -0.5, v147, v97
	v_add_f32_e32 v143, v143, v112
	v_fmac_f32_e32 v148, 0xbf167918, v145
	v_add_f32_e32 v151, v151, v158
	v_fmac_f32_e32 v96, 0x3f167918, v145
	v_sub_f32_e32 v100, v100, v112
	v_mov_b32_e32 v112, v147
	v_fmac_f32_e32 v148, 0x3e9e377a, v151
	v_fmac_f32_e32 v96, 0x3e9e377a, v151
	;; [unrolled: 1-line block ×3, first 2 shown]
	v_sub_f32_e32 v104, v104, v108
	v_sub_f32_e32 v108, v101, v105
	;; [unrolled: 1-line block ×3, first 2 shown]
	v_fmac_f32_e32 v147, 0xbf737871, v100
	v_fmac_f32_e32 v112, 0x3f167918, v104
	v_add_f32_e32 v108, v108, v151
	v_fmac_f32_e32 v147, 0xbf167918, v104
	v_fmac_f32_e32 v112, 0x3e9e377a, v108
	;; [unrolled: 1-line block ×3, first 2 shown]
	v_add_f32_e32 v108, v101, v113
	v_add_f32_e32 v145, v97, v101
	v_fma_f32 v97, -0.5, v108, v97
	v_mov_b32_e32 v108, v97
	v_add_f32_e32 v145, v145, v105
	v_fmac_f32_e32 v108, 0xbf737871, v104
	v_sub_f32_e32 v101, v105, v101
	v_sub_f32_e32 v105, v109, v113
	v_fmac_f32_e32 v97, 0x3f737871, v104
	v_fmac_f32_e32 v108, 0x3f167918, v100
	v_add_f32_e32 v101, v101, v105
	v_fmac_f32_e32 v97, 0xbf167918, v100
	v_fmac_f32_e32 v108, 0x3e9e377a, v101
	;; [unrolled: 1-line block ×3, first 2 shown]
	v_add_f32_e32 v101, v106, v110
	v_fma_f32 v101, -0.5, v101, v98
	v_add_f32_e32 v145, v145, v109
	v_sub_f32_e32 v104, v103, v115
	v_mov_b32_e32 v105, v101
	v_add_f32_e32 v145, v145, v113
	v_fmac_f32_e32 v105, 0xbf737871, v104
	v_sub_f32_e32 v109, v107, v111
	v_sub_f32_e32 v113, v102, v106
	;; [unrolled: 1-line block ×3, first 2 shown]
	v_fmac_f32_e32 v101, 0x3f737871, v104
	v_fmac_f32_e32 v105, 0xbf167918, v109
	v_add_f32_e32 v113, v113, v151
	v_fmac_f32_e32 v101, 0x3f167918, v109
	v_fmac_f32_e32 v105, 0x3e9e377a, v113
	;; [unrolled: 1-line block ×3, first 2 shown]
	v_add_f32_e32 v113, v102, v114
	v_add_f32_e32 v100, v98, v102
	v_fma_f32 v98, -0.5, v113, v98
	v_mov_b32_e32 v113, v98
	v_add_f32_e32 v100, v100, v106
	v_fmac_f32_e32 v113, 0x3f737871, v109
	v_fmac_f32_e32 v98, 0xbf737871, v109
	v_add_f32_e32 v109, v107, v111
	v_add_f32_e32 v100, v100, v110
	v_sub_f32_e32 v151, v106, v102
	v_sub_f32_e32 v158, v110, v114
	v_fma_f32 v109, -0.5, v109, v99
	v_add_f32_e32 v100, v100, v114
	v_fmac_f32_e32 v113, 0xbf167918, v104
	v_add_f32_e32 v151, v151, v158
	v_fmac_f32_e32 v98, 0x3f167918, v104
	v_sub_f32_e32 v102, v102, v114
	v_mov_b32_e32 v114, v109
	v_fmac_f32_e32 v113, 0x3e9e377a, v151
	v_fmac_f32_e32 v98, 0x3e9e377a, v151
	;; [unrolled: 1-line block ×3, first 2 shown]
	v_sub_f32_e32 v106, v106, v110
	v_sub_f32_e32 v110, v103, v107
	;; [unrolled: 1-line block ×3, first 2 shown]
	v_fmac_f32_e32 v109, 0xbf737871, v102
	v_fmac_f32_e32 v114, 0x3f167918, v106
	v_add_f32_e32 v110, v110, v151
	v_fmac_f32_e32 v109, 0xbf167918, v106
	v_fmac_f32_e32 v114, 0x3e9e377a, v110
	;; [unrolled: 1-line block ×3, first 2 shown]
	v_add_f32_e32 v110, v103, v115
	v_add_f32_e32 v104, v99, v103
	v_fmac_f32_e32 v99, -0.5, v110
	v_add_f32_e32 v104, v104, v107
	v_mov_b32_e32 v110, v99
	v_sub_f32_e32 v103, v107, v103
	v_sub_f32_e32 v107, v111, v115
	v_fmac_f32_e32 v99, 0x3f737871, v106
	v_add_f32_e32 v103, v103, v107
	v_fmac_f32_e32 v99, 0xbf167918, v102
	v_fmac_f32_e32 v99, 0x3e9e377a, v103
	;; [unrolled: 1-line block ×3, first 2 shown]
	v_mul_f32_e32 v106, 0xbf737871, v99
	v_fmac_f32_e32 v110, 0x3f167918, v102
	v_mul_f32_e32 v102, 0xbf167918, v114
	v_fmac_f32_e32 v106, 0xbe9e377a, v98
	;; [unrolled: 2-line block ×3, first 2 shown]
	v_add_f32_e32 v173, v96, v106
	v_fmac_f32_e32 v99, 0x3f737871, v98
	v_sub_f32_e32 v183, v96, v106
	v_add_f32_e32 v96, v80, v88
	v_add_f32_e32 v104, v104, v111
	;; [unrolled: 1-line block ×4, first 2 shown]
	v_sub_f32_e32 v179, v146, v102
	v_sub_f32_e32 v184, v97, v99
	v_fma_f32 v102, -0.5, v96, v84
	v_sub_f32_e32 v96, v92, v88
	v_sub_f32_e32 v97, v0, v80
	v_add_f32_e32 v104, v104, v115
	v_fmac_f32_e32 v110, 0x3e9e377a, v103
	v_add_f32_e32 v111, v97, v96
	v_add_f32_e32 v96, v0, v92
	v_mul_f32_e32 v103, 0xbf737871, v110
	v_mul_f32_e32 v107, 0xbf167918, v109
	v_add_f32_e32 v168, v145, v104
	v_mul_f32_e32 v110, 0x3e9e377a, v110
	v_sub_f32_e32 v178, v145, v104
	v_fma_f32 v104, -0.5, v96, v84
	v_sub_f32_e32 v96, v88, v92
	v_sub_f32_e32 v97, v80, v0
	v_fmac_f32_e32 v103, 0x3e9e377a, v113
	v_fmac_f32_e32 v107, 0xbf4f1bbd, v101
	;; [unrolled: 1-line block ×3, first 2 shown]
	v_mul_f32_e32 v98, 0xbf4f1bbd, v109
	v_add_f32_e32 v113, v97, v96
	v_add_f32_e32 v96, v81, v89
	;; [unrolled: 1-line block ×3, first 2 shown]
	v_fmac_f32_e32 v98, 0x3f167918, v101
	v_sub_f32_e32 v185, v144, v107
	v_fma_f32 v107, -0.5, v96, v85
	v_sub_f32_e32 v96, v93, v89
	v_sub_f32_e32 v97, v1, v81
	v_add_f32_e32 v176, v147, v98
	v_sub_f32_e32 v186, v147, v98
	v_add_f32_e32 v147, v97, v96
	v_add_f32_e32 v96, v1, v93
	;; [unrolled: 1-line block ×3, first 2 shown]
	v_sub_f32_e32 v182, v108, v110
	v_fma_f32 v108, -0.5, v96, v85
	v_sub_f32_e32 v96, v89, v93
	v_sub_f32_e32 v97, v81, v1
	v_add_f32_e32 v171, v148, v103
	v_sub_f32_e32 v181, v148, v103
	v_add_f32_e32 v148, v97, v96
	v_sub_f32_e32 v97, v94, v90
	v_sub_f32_e32 v98, v2, v82
	v_add_f32_e32 v161, v98, v97
	v_sub_f32_e32 v98, v90, v94
	;; [unrolled: 3-line block ×3, first 2 shown]
	v_sub_f32_e32 v110, v3, v83
	v_add_f32_e32 v98, v91, v83
	v_add_f32_e32 v165, v110, v99
	;; [unrolled: 1-line block ×3, first 2 shown]
	v_mul_f32_e32 v105, 0x3f167918, v105
	v_add_f32_e32 v96, v90, v82
	v_add_f32_e32 v97, v2, v94
	v_fma_f32 v159, -0.5, v98, v87
	v_fma_f32 v160, -0.5, v99, v87
	v_fmac_f32_e32 v105, 0x3f4f1bbd, v114
	v_fma_f32 v144, -0.5, v96, v86
	v_fma_f32 v145, -0.5, v97, v86
	v_sub_f32_e32 v163, v94, v2
	v_mov_b32_e32 v98, v159
	v_sub_f32_e32 v164, v90, v82
	v_mov_b32_e32 v99, v160
	v_add_f32_e32 v170, v112, v105
	v_sub_f32_e32 v180, v112, v105
	v_sub_f32_e32 v151, v95, v3
	v_mov_b32_e32 v96, v144
	v_sub_f32_e32 v158, v91, v83
	v_mov_b32_e32 v97, v145
	v_fmac_f32_e32 v98, 0x3f737871, v163
	v_fmac_f32_e32 v99, 0xbf737871, v164
	v_sub_f32_e32 v110, v91, v95
	v_sub_f32_e32 v112, v83, v3
	v_add_f32_e32 v167, v143, v100
	v_sub_f32_e32 v177, v143, v100
	v_sub_f32_e32 v106, v93, v1
	v_mov_b32_e32 v100, v102
	v_sub_f32_e32 v109, v89, v81
	v_mov_b32_e32 v101, v104
	;; [unrolled: 2-line block ×4, first 2 shown]
	v_fmac_f32_e32 v96, 0xbf737871, v151
	v_fmac_f32_e32 v97, 0x3f737871, v158
	v_fmac_f32_e32 v98, 0x3f167918, v164
	v_fmac_f32_e32 v99, 0x3f167918, v163
	v_add_f32_e32 v166, v112, v110
	v_fmac_f32_e32 v100, 0xbf737871, v106
	v_fmac_f32_e32 v101, 0x3f737871, v109
	;; [unrolled: 1-line block ×14, first 2 shown]
	v_mul_f32_e32 v110, 0xbf167918, v98
	v_mul_f32_e32 v112, 0xbf737871, v99
	;; [unrolled: 1-line block ×4, first 2 shown]
	v_fmac_f32_e32 v100, 0x3e9e377a, v111
	v_fmac_f32_e32 v101, 0x3e9e377a, v113
	;; [unrolled: 1-line block ×8, first 2 shown]
	s_mov_b32 s6, 0xbe9e377a
	s_mov_b32 s7, 0xbf4f1bbd
	v_sub_f32_e32 v96, v100, v110
	v_sub_f32_e32 v98, v101, v112
	;; [unrolled: 1-line block ×4, first 2 shown]
	s_barrier
	ds_write_b128 v153, v[167:170]
	ds_write_b128 v153, v[171:174] offset:16
	ds_write_b128 v153, v[175:178] offset:32
	ds_write_b128 v153, v[179:182] offset:48
	ds_write_b128 v153, v[183:186] offset:64
	s_and_saveexec_b64 s[4:5], s[0:1]
	s_cbranch_execz .LBB0_21
; %bb.20:
	v_mul_f32_e32 v167, 0x3f167918, v109
	v_mul_f32_e32 v168, 0x3f737871, v109
	;; [unrolled: 1-line block ×4, first 2 shown]
	v_sub_f32_e32 v107, v107, v109
	v_mul_f32_e32 v147, 0x3e9e377a, v147
	v_mul_f32_e32 v170, 0x3f737871, v151
	v_sub_f32_e32 v107, v107, v169
	v_mul_f32_e32 v171, 0x3f167918, v158
	v_add_f32_e32 v147, v147, v107
	v_add_f32_e32 v107, v170, v144
	;; [unrolled: 1-line block ×3, first 2 shown]
	v_mul_f32_e32 v161, 0x3e9e377a, v161
	v_mul_f32_e32 v172, 0x3f737871, v163
	v_add_f32_e32 v107, v171, v107
	v_add_f32_e32 v85, v89, v85
	v_mul_f32_e32 v173, 0x3f167918, v164
	v_add_f32_e32 v144, v161, v107
	v_sub_f32_e32 v107, v159, v172
	v_add_f32_e32 v81, v81, v85
	v_mul_f32_e32 v143, 0x3f737871, v143
	v_mul_f32_e32 v165, 0x3e9e377a, v165
	v_sub_f32_e32 v107, v107, v173
	v_add_f32_e32 v85, v1, v81
	v_add_f32_e32 v1, v95, v87
	v_mul_f32_e32 v114, 0x3f167918, v114
	v_add_f32_e32 v159, v165, v107
	v_add_f32_e32 v107, v143, v108
	;; [unrolled: 1-line block ×3, first 2 shown]
	v_mul_f32_e32 v153, 0x3f737871, v106
	v_mul_f32_e32 v148, 0x3e9e377a, v148
	;; [unrolled: 1-line block ×3, first 2 shown]
	v_sub_f32_e32 v107, v107, v114
	v_add_f32_e32 v1, v83, v1
	v_mul_f32_e32 v151, 0x3f167918, v151
	v_add_f32_e32 v114, v148, v107
	v_sub_f32_e32 v107, v145, v158
	v_add_f32_e32 v89, v3, v1
	v_add_f32_e32 v1, v153, v102
	v_mul_f32_e32 v111, 0x3e9e377a, v111
	v_mul_f32_e32 v162, 0x3e9e377a, v162
	;; [unrolled: 1-line block ×3, first 2 shown]
	v_add_f32_e32 v107, v151, v107
	v_add_f32_e32 v1, v167, v1
	v_mul_f32_e32 v163, 0x3f167918, v163
	v_add_f32_e32 v143, v162, v107
	v_add_f32_e32 v107, v164, v160
	;; [unrolled: 1-line block ×3, first 2 shown]
	v_mul_f32_e32 v1, 0x3f167918, v159
	v_mul_f32_e32 v106, 0x3f167918, v106
	;; [unrolled: 1-line block ×3, first 2 shown]
	v_sub_f32_e32 v107, v107, v163
	v_fma_f32 v93, v144, s7, -v1
	v_sub_f32_e32 v1, v104, v168
	v_mul_f32_e32 v113, 0x3e9e377a, v113
	v_add_f32_e32 v145, v166, v107
	v_add_f32_e32 v1, v106, v1
	;; [unrolled: 1-line block ×3, first 2 shown]
	v_mul_f32_e32 v1, 0x3f737871, v145
	v_fma_f32 v102, v143, s6, -v1
	v_add_f32_e32 v1, v92, v84
	v_add_f32_e32 v1, v88, v1
	;; [unrolled: 1-line block ×7, first 2 shown]
	v_mul_f32_e32 v161, 0xbf4f1bbd, v159
	v_mul_f32_e32 v148, 0xbe9e377a, v145
	v_add_f32_e32 v88, v2, v0
	v_fmac_f32_e32 v161, 0x3f167918, v144
	v_fmac_f32_e32 v148, 0x3f737871, v143
	v_sub_f32_e32 v3, v85, v89
	v_sub_f32_e32 v2, v84, v88
	v_add_f32_e32 v87, v103, v115
	v_add_f32_e32 v85, v89, v85
	;; [unrolled: 1-line block ×4, first 2 shown]
	v_lshlrev_b32_e32 v88, 3, v152
	v_sub_f32_e32 v109, v147, v161
	v_sub_f32_e32 v107, v114, v148
	;; [unrolled: 1-line block ×4, first 2 shown]
	v_add_f32_e32 v1, v147, v161
	v_add_f32_e32 v83, v114, v148
	;; [unrolled: 1-line block ×6, first 2 shown]
	ds_write_b128 v88, v[84:87]
	ds_write_b128 v88, v[80:83] offset:16
	ds_write_b128 v88, v[0:3] offset:32
	;; [unrolled: 1-line block ×4, first 2 shown]
.LBB0_21:
	s_or_b64 exec, exec, s[4:5]
	s_waitcnt lgkmcnt(0)
	s_barrier
	ds_read2_b64 v[0:3], v149 offset1:90
	v_add_u32_e32 v112, 0x400, v149
	ds_read2_b64 v[80:83], v112 offset0:52 offset1:142
	v_add_u32_e32 v113, 0x800, v149
	ds_read2_b64 v[84:87], v113 offset0:104 offset1:194
	;; [unrolled: 2-line block ×3, first 2 shown]
	v_add_u32_e32 v115, 0x1400, v149
	s_waitcnt lgkmcnt(3)
	v_mul_f32_e32 v144, v25, v3
	ds_read2_b64 v[92:95], v115 offset0:80 offset1:170
	v_add_u32_e32 v100, 0x1800, v149
	v_fmac_f32_e32 v144, v24, v2
	v_mul_f32_e32 v2, v25, v2
	s_waitcnt lgkmcnt(3)
	v_mul_f32_e32 v25, v17, v83
	v_mul_f32_e32 v17, v17, v82
	ds_read2_b64 v[100:103], v100 offset0:132 offset1:222
	v_add_u32_e32 v143, 0x2000, v149
	v_fmac_f32_e32 v25, v16, v82
	v_fma_f32 v16, v16, v83, -v17
	s_waitcnt lgkmcnt(3)
	v_mul_f32_e32 v17, v19, v85
	v_mul_f32_e32 v19, v19, v84
	ds_read2_b64 v[104:107], v143 offset0:56 offset1:146
	v_fmac_f32_e32 v17, v18, v84
	v_fma_f32 v18, v18, v85, -v19
	v_mul_f32_e32 v19, v9, v87
	v_mul_f32_e32 v9, v9, v86
	v_add_u32_e32 v108, 0x2400, v149
	v_fmac_f32_e32 v19, v8, v86
	v_fma_f32 v8, v8, v87, -v9
	s_waitcnt lgkmcnt(3)
	v_mul_f32_e32 v9, v11, v89
	v_mul_f32_e32 v11, v11, v88
	ds_read2_b64 v[108:111], v108 offset0:108 offset1:198
	v_fmac_f32_e32 v9, v10, v88
	v_fma_f32 v10, v10, v89, -v11
	v_mul_f32_e32 v11, v5, v91
	v_mul_f32_e32 v5, v5, v90
	v_fma_f32 v2, v24, v3, -v2
	v_mul_f32_e32 v3, v27, v81
	v_mul_f32_e32 v24, v27, v80
	v_fmac_f32_e32 v11, v4, v90
	v_fma_f32 v4, v4, v91, -v5
	s_waitcnt lgkmcnt(3)
	v_mul_f32_e32 v5, v7, v93
	v_mul_f32_e32 v7, v7, v92
	v_fmac_f32_e32 v3, v26, v80
	v_fma_f32 v24, v26, v81, -v24
	v_fmac_f32_e32 v5, v6, v92
	v_fma_f32 v6, v6, v93, -v7
	v_mul_f32_e32 v7, v29, v95
	v_mul_f32_e32 v26, v29, v94
	s_waitcnt lgkmcnt(2)
	v_mul_f32_e32 v29, v21, v103
	v_mul_f32_e32 v21, v21, v102
	v_fmac_f32_e32 v29, v20, v102
	v_fma_f32 v20, v20, v103, -v21
	s_waitcnt lgkmcnt(1)
	v_mul_f32_e32 v21, v23, v105
	v_mul_f32_e32 v23, v23, v104
	v_fmac_f32_e32 v21, v22, v104
	v_fma_f32 v22, v22, v105, -v23
	v_mul_f32_e32 v23, v13, v107
	v_mul_f32_e32 v13, v13, v106
	v_fmac_f32_e32 v23, v12, v106
	v_fma_f32 v12, v12, v107, -v13
	s_waitcnt lgkmcnt(0)
	v_mul_f32_e32 v13, v15, v109
	v_mul_f32_e32 v15, v15, v108
	v_fmac_f32_e32 v7, v28, v94
	v_fma_f32 v26, v28, v95, -v26
	v_mul_f32_e32 v27, v31, v101
	v_mul_f32_e32 v28, v31, v100
	v_fmac_f32_e32 v13, v14, v108
	v_fma_f32 v14, v14, v109, -v15
	v_mul_f32_e32 v15, v142, v111
	v_fmac_f32_e32 v27, v30, v100
	v_fma_f32 v28, v30, v101, -v28
	v_fmac_f32_e32 v15, v141, v110
	v_sub_f32_e32 v5, v0, v5
	v_sub_f32_e32 v6, v1, v6
	;; [unrolled: 1-line block ×4, first 2 shown]
	v_mul_f32_e32 v30, v142, v110
	v_fma_f32 v17, v17, 2.0, -v21
	v_fma_f32 v18, v18, 2.0, -v22
	v_sub_f32_e32 v27, v3, v27
	v_sub_f32_e32 v28, v24, v28
	;; [unrolled: 1-line block ×8, first 2 shown]
	v_add_f32_e32 v22, v5, v22
	v_sub_f32_e32 v21, v6, v21
	v_fma_f32 v30, v141, v111, -v30
	v_fma_f32 v0, v0, 2.0, -v5
	v_fma_f32 v1, v1, 2.0, -v6
	;; [unrolled: 1-line block ×6, first 2 shown]
	v_sub_f32_e32 v26, v2, v26
	v_fma_f32 v31, v144, 2.0, -v7
	v_sub_f32_e32 v12, v8, v12
	v_fma_f32 v19, v19, 2.0, -v23
	v_fma_f32 v25, v25, 2.0, -v29
	;; [unrolled: 1-line block ×3, first 2 shown]
	v_add_f32_e32 v14, v27, v14
	v_sub_f32_e32 v13, v28, v13
	v_mov_b32_e32 v86, v22
	v_mov_b32_e32 v87, v21
	v_fma_f32 v8, v8, 2.0, -v12
	v_sub_f32_e32 v20, v16, v20
	v_sub_f32_e32 v30, v4, v30
	;; [unrolled: 1-line block ×7, first 2 shown]
	v_add_f32_e32 v12, v7, v12
	v_sub_f32_e32 v23, v26, v23
	v_sub_f32_e32 v11, v25, v11
	v_fmac_f32_e32 v86, 0x3f3504f3, v14
	v_fmac_f32_e32 v87, 0x3f3504f3, v13
	v_fma_f32 v2, v2, 2.0, -v26
	v_fma_f32 v4, v4, 2.0, -v30
	;; [unrolled: 1-line block ×7, first 2 shown]
	v_add_f32_e32 v30, v29, v30
	v_sub_f32_e32 v15, v20, v15
	v_add_f32_e32 v84, v17, v10
	v_sub_f32_e32 v85, v18, v9
	v_fmac_f32_e32 v86, 0x3f3504f3, v13
	v_fmac_f32_e32 v87, 0xbf3504f3, v14
	v_fma_f32 v16, v16, 2.0, -v20
	v_fma_f32 v0, v0, 2.0, -v17
	;; [unrolled: 1-line block ×10, first 2 shown]
	v_mov_b32_e32 v83, v6
	v_fma_f32 v10, v17, 2.0, -v84
	v_fma_f32 v17, v18, 2.0, -v85
	v_fma_f32 v14, v22, 2.0, -v86
	v_fma_f32 v18, v21, 2.0, -v87
	v_sub_f32_e32 v21, v31, v25
	v_mov_b32_e32 v22, v7
	v_mov_b32_e32 v25, v26
	v_sub_f32_e32 v8, v2, v8
	v_sub_f32_e32 v80, v0, v3
	v_mov_b32_e32 v82, v5
	v_fmac_f32_e32 v83, 0xbf3504f3, v28
	v_fmac_f32_e32 v22, 0xbf3504f3, v29
	;; [unrolled: 1-line block ×3, first 2 shown]
	v_sub_f32_e32 v4, v16, v4
	v_fma_f32 v3, v0, 2.0, -v80
	v_fmac_f32_e32 v82, 0xbf3504f3, v27
	v_fmac_f32_e32 v83, 0xbf3504f3, v27
	v_fma_f32 v0, v31, 2.0, -v21
	v_fmac_f32_e32 v22, 0x3f3504f3, v20
	v_fmac_f32_e32 v25, 0xbf3504f3, v29
	v_sub_f32_e32 v29, v8, v11
	v_mov_b32_e32 v31, v12
	v_fmac_f32_e32 v82, 0x3f3504f3, v28
	v_fma_f32 v28, v6, 2.0, -v83
	v_fma_f32 v6, v7, 2.0, -v22
	;; [unrolled: 1-line block ×3, first 2 shown]
	v_add_f32_e32 v26, v19, v4
	v_fma_f32 v13, v8, 2.0, -v29
	v_fmac_f32_e32 v31, 0x3f3504f3, v30
	v_mov_b32_e32 v88, v23
	v_mov_b32_e32 v9, v17
	v_fma_f32 v2, v2, 2.0, -v8
	v_fma_f32 v11, v19, 2.0, -v26
	v_fmac_f32_e32 v88, 0x3f3504f3, v15
	v_fmac_f32_e32 v31, 0x3f3504f3, v15
	v_mov_b32_e32 v8, v10
	v_fmac_f32_e32 v9, 0xbf3504f3, v13
	v_sub_f32_e32 v24, v1, v24
	v_fmac_f32_e32 v88, 0xbf3504f3, v30
	v_fma_f32 v15, v12, 2.0, -v31
	v_fmac_f32_e32 v8, 0xbf3504f3, v11
	v_fmac_f32_e32 v9, 0xbf3504f3, v11
	v_mov_b32_e32 v12, v14
	v_fma_f32 v27, v5, 2.0, -v82
	v_fma_f32 v19, v23, 2.0, -v88
	v_mov_b32_e32 v5, v28
	v_fmac_f32_e32 v8, 0x3f3504f3, v13
	v_fma_f32 v11, v17, 2.0, -v9
	v_fmac_f32_e32 v12, 0xbec3ef15, v15
	v_mov_b32_e32 v13, v18
	v_sub_f32_e32 v17, v24, v21
	v_mov_b32_e32 v20, v82
	v_fma_f32 v16, v16, 2.0, -v4
	v_fma_f32 v81, v1, 2.0, -v24
	v_mov_b32_e32 v4, v27
	v_fmac_f32_e32 v5, 0xbf6c835e, v7
	v_fmac_f32_e32 v13, 0xbec3ef15, v19
	;; [unrolled: 1-line block ×3, first 2 shown]
	v_fma_f32 v19, v24, 2.0, -v17
	v_fmac_f32_e32 v20, 0x3ec3ef15, v22
	v_mov_b32_e32 v21, v83
	v_mov_b32_e32 v24, v84
	v_sub_f32_e32 v16, v2, v16
	v_fmac_f32_e32 v4, 0xbf6c835e, v6
	v_fmac_f32_e32 v5, 0xbec3ef15, v6
	;; [unrolled: 1-line block ×5, first 2 shown]
	v_mov_b32_e32 v25, v85
	v_fma_f32 v1, v2, 2.0, -v16
	v_fmac_f32_e32 v4, 0x3ec3ef15, v7
	v_fma_f32 v7, v28, 2.0, -v5
	v_fmac_f32_e32 v25, 0x3f3504f3, v29
	v_fmac_f32_e32 v24, 0x3f3504f3, v29
	v_mov_b32_e32 v28, v86
	v_mov_b32_e32 v29, v87
	v_sub_f32_e32 v0, v3, v0
	v_sub_f32_e32 v1, v81, v1
	v_fmac_f32_e32 v28, 0x3f6c835e, v31
	v_fmac_f32_e32 v29, 0x3f6c835e, v88
	v_fma_f32 v2, v3, 2.0, -v0
	v_fma_f32 v3, v81, 2.0, -v1
	;; [unrolled: 1-line block ×3, first 2 shown]
	v_fmac_f32_e32 v13, 0xbf6c835e, v15
	v_add_f32_e32 v16, v80, v16
	v_fmac_f32_e32 v21, 0xbf6c835e, v22
	v_fmac_f32_e32 v25, 0xbf3504f3, v26
	;; [unrolled: 1-line block ×4, first 2 shown]
	v_fma_f32 v10, v10, 2.0, -v8
	v_fma_f32 v14, v14, 2.0, -v12
	;; [unrolled: 1-line block ×10, first 2 shown]
	s_barrier
	ds_write2_b64 v154, v[2:3], v[6:7] offset1:10
	ds_write2_b64 v154, v[10:11], v[14:15] offset0:20 offset1:30
	ds_write2_b64 v154, v[18:19], v[22:23] offset0:40 offset1:50
	;; [unrolled: 1-line block ×7, first 2 shown]
	v_add_u32_e32 v4, 0x1c00, v149
	s_waitcnt lgkmcnt(0)
	s_barrier
	ds_read2_b64 v[8:11], v149 offset1:90
	ds_read2_b64 v[0:3], v113 offset0:104 offset1:224
	ds_read2_b64 v[24:27], v4 offset0:64 offset1:154
	;; [unrolled: 1-line block ×6, first 2 shown]
	ds_read_b64 v[30:31], v149 offset:10560
	s_and_saveexec_b64 s[4:5], s[2:3]
	s_cbranch_execz .LBB0_23
; %bb.22:
	ds_read_b64 v[28:29], v149 offset:3600
	ds_read_b64 v[96:97], v149 offset:7440
	;; [unrolled: 1-line block ×3, first 2 shown]
.LBB0_23:
	s_or_b64 exec, exec, s[4:5]
	s_waitcnt lgkmcnt(6)
	v_mul_f32_e32 v80, v37, v3
	v_fmac_f32_e32 v80, v36, v2
	v_mul_f32_e32 v2, v37, v2
	v_fma_f32 v36, v36, v3, -v2
	s_waitcnt lgkmcnt(5)
	v_mul_f32_e32 v37, v39, v25
	v_mul_f32_e32 v2, v39, v24
	v_fmac_f32_e32 v37, v38, v24
	v_fma_f32 v24, v38, v25, -v2
	s_waitcnt lgkmcnt(4)
	v_mul_f32_e32 v25, v45, v21
	v_mul_f32_e32 v2, v45, v20
	v_fmac_f32_e32 v25, v44, v20
	v_fma_f32 v20, v44, v21, -v2
	v_mul_f32_e32 v21, v47, v27
	v_mul_f32_e32 v2, v47, v26
	v_fmac_f32_e32 v21, v46, v26
	v_fma_f32 v26, v46, v27, -v2
	;; [unrolled: 4-line block ×3, first 2 shown]
	s_waitcnt lgkmcnt(2)
	v_mul_f32_e32 v2, v43, v16
	v_fma_f32 v38, v42, v17, -v2
	s_waitcnt lgkmcnt(1)
	v_mul_f32_e32 v2, v49, v12
	v_mul_f32_e32 v23, v43, v17
	v_fma_f32 v40, v48, v13, -v2
	v_mul_f32_e32 v2, v51, v18
	v_fmac_f32_e32 v23, v42, v16
	v_fma_f32 v42, v50, v19, -v2
	v_mul_f32_e32 v2, v53, v14
	v_fma_f32 v44, v52, v15, -v2
	s_waitcnt lgkmcnt(0)
	v_mul_f32_e32 v45, v55, v31
	v_mul_f32_e32 v2, v55, v30
	v_fmac_f32_e32 v45, v54, v30
	v_fma_f32 v30, v54, v31, -v2
	v_mul_f32_e32 v2, v57, v96
	v_fma_f32 v47, v56, v97, -v2
	v_mul_f32_e32 v2, v59, v98
	v_add_f32_e32 v3, v80, v37
	v_mul_f32_e32 v39, v49, v13
	v_fma_f32 v49, v58, v99, -v2
	v_add_f32_e32 v2, v8, v80
	v_fma_f32 v8, -0.5, v3, v8
	v_fmac_f32_e32 v39, v48, v12
	v_sub_f32_e32 v3, v36, v24
	v_mov_b32_e32 v12, v8
	v_add_f32_e32 v13, v36, v24
	v_mul_f32_e32 v43, v53, v15
	v_fmac_f32_e32 v12, 0xbf5db3d7, v3
	v_fmac_f32_e32 v8, 0x3f5db3d7, v3
	v_add_f32_e32 v3, v9, v36
	v_fma_f32 v9, -0.5, v13, v9
	v_fmac_f32_e32 v43, v52, v14
	v_sub_f32_e32 v14, v80, v37
	v_mov_b32_e32 v13, v9
	v_add_f32_e32 v15, v25, v21
	v_fmac_f32_e32 v13, 0x3f5db3d7, v14
	v_fmac_f32_e32 v9, 0xbf5db3d7, v14
	v_add_f32_e32 v14, v10, v25
	v_fma_f32 v10, -0.5, v15, v10
	v_sub_f32_e32 v15, v20, v26
	v_mov_b32_e32 v16, v10
	v_add_f32_e32 v17, v20, v26
	v_mul_f32_e32 v41, v51, v19
	v_fmac_f32_e32 v16, 0xbf5db3d7, v15
	v_fmac_f32_e32 v10, 0x3f5db3d7, v15
	v_add_f32_e32 v15, v11, v20
	v_fmac_f32_e32 v11, -0.5, v17
	v_fmac_f32_e32 v41, v50, v18
	v_sub_f32_e32 v18, v25, v21
	v_mov_b32_e32 v17, v11
	v_add_f32_e32 v19, v27, v23
	v_fmac_f32_e32 v17, 0x3f5db3d7, v18
	v_fmac_f32_e32 v11, 0xbf5db3d7, v18
	v_add_f32_e32 v18, v4, v27
	v_fma_f32 v4, -0.5, v19, v4
	v_add_f32_e32 v14, v14, v21
	v_sub_f32_e32 v19, v22, v38
	v_mov_b32_e32 v20, v4
	v_add_f32_e32 v21, v22, v38
	v_fmac_f32_e32 v20, 0xbf5db3d7, v19
	v_fmac_f32_e32 v4, 0x3f5db3d7, v19
	v_add_f32_e32 v19, v5, v22
	v_fma_f32 v5, -0.5, v21, v5
	v_add_f32_e32 v18, v18, v23
	;; [unrolled: 8-line block ×3, first 2 shown]
	v_sub_f32_e32 v23, v40, v42
	v_mov_b32_e32 v24, v6
	v_add_f32_e32 v25, v40, v42
	v_fmac_f32_e32 v24, 0xbf5db3d7, v23
	v_fmac_f32_e32 v6, 0x3f5db3d7, v23
	v_add_f32_e32 v23, v7, v40
	v_fmac_f32_e32 v7, -0.5, v25
	v_add_f32_e32 v15, v15, v26
	v_sub_f32_e32 v26, v39, v41
	v_mov_b32_e32 v25, v7
	v_add_f32_e32 v27, v43, v45
	v_fmac_f32_e32 v25, 0x3f5db3d7, v26
	v_fmac_f32_e32 v7, 0xbf5db3d7, v26
	v_add_f32_e32 v26, v0, v43
	v_fma_f32 v0, -0.5, v27, v0
	v_add_f32_e32 v19, v19, v38
	v_sub_f32_e32 v27, v44, v30
	v_mov_b32_e32 v38, v0
	v_fmac_f32_e32 v38, 0xbf5db3d7, v27
	v_fmac_f32_e32 v0, 0x3f5db3d7, v27
	v_add_f32_e32 v27, v1, v44
	v_mul_f32_e32 v46, v57, v97
	v_mul_f32_e32 v48, v59, v99
	v_add_f32_e32 v27, v27, v30
	v_add_f32_e32 v30, v44, v30
	v_fmac_f32_e32 v46, v56, v96
	v_fmac_f32_e32 v48, v58, v98
	v_fmac_f32_e32 v1, -0.5, v30
	v_sub_f32_e32 v30, v43, v45
	v_mov_b32_e32 v39, v1
	v_add_f32_e32 v31, v46, v48
	v_fmac_f32_e32 v39, 0x3f5db3d7, v30
	v_fmac_f32_e32 v1, 0xbf5db3d7, v30
	v_add_f32_e32 v30, v28, v46
	v_fmac_f32_e32 v28, -0.5, v31
	v_add_f32_e32 v2, v2, v37
	v_sub_f32_e32 v31, v47, v49
	v_mov_b32_e32 v36, v28
	v_add_f32_e32 v37, v47, v49
	v_fmac_f32_e32 v36, 0xbf5db3d7, v31
	v_fmac_f32_e32 v28, 0x3f5db3d7, v31
	v_add_f32_e32 v31, v29, v47
	v_fmac_f32_e32 v29, -0.5, v37
	v_sub_f32_e32 v40, v46, v48
	v_mov_b32_e32 v37, v29
	s_barrier
	ds_write2_b64 v149, v[2:3], v[12:13] offset1:160
	ds_write_b64 v149, v[8:9] offset:2560
	ds_write2_b64 v155, v[14:15], v[16:17] offset1:160
	ds_write_b64 v155, v[10:11] offset:2560
	v_add_u32_e32 v2, 0xe00, v149
	v_add_f32_e32 v22, v22, v41
	v_add_f32_e32 v23, v23, v42
	;; [unrolled: 1-line block ×5, first 2 shown]
	v_fmac_f32_e32 v37, 0x3f5db3d7, v40
	v_fmac_f32_e32 v29, 0xbf5db3d7, v40
	ds_write2_b64 v2, v[18:19], v[20:21] offset0:52 offset1:212
	ds_write_b64 v149, v[4:5] offset:6560
	ds_write2_b64 v156, v[22:23], v[24:25] offset1:160
	ds_write_b64 v156, v[6:7] offset:2560
	v_add_u32_e32 v2, 0x1c00, v157
	ds_write2_b64 v2, v[26:27], v[38:39] offset0:64 offset1:224
	ds_write_b64 v157, v[0:1] offset:10240
	s_and_saveexec_b64 s[4:5], s[2:3]
	s_cbranch_execz .LBB0_25
; %bb.24:
	v_add_u32_e32 v0, 0x1c00, v123
	ds_write2_b64 v0, v[30:31], v[36:37] offset0:64 offset1:224
	ds_write_b64 v123, v[28:29] offset:10240
.LBB0_25:
	s_or_b64 exec, exec, s[4:5]
	v_add_u32_e32 v0, 0x800, v149
	v_add_u32_e32 v8, 0x1c00, v149
	;; [unrolled: 1-line block ×6, first 2 shown]
	s_waitcnt lgkmcnt(0)
	s_barrier
	ds_read2_b64 v[4:7], v149 offset1:90
	ds_read2_b64 v[0:3], v0 offset0:104 offset1:224
	ds_read2_b64 v[24:27], v8 offset0:64 offset1:154
	;; [unrolled: 1-line block ×6, first 2 shown]
	ds_read_b64 v[38:39], v149 offset:10560
	s_and_saveexec_b64 s[4:5], s[2:3]
	s_cbranch_execz .LBB0_27
; %bb.26:
	ds_read_b64 v[30:31], v149 offset:3600
	ds_read_b64 v[36:37], v149 offset:7440
	;; [unrolled: 1-line block ×3, first 2 shown]
.LBB0_27:
	s_or_b64 exec, exec, s[4:5]
	s_waitcnt lgkmcnt(6)
	v_mul_f32_e32 v44, v61, v3
	v_fmac_f32_e32 v44, v60, v2
	v_mul_f32_e32 v2, v61, v2
	v_fma_f32 v45, v60, v3, -v2
	s_waitcnt lgkmcnt(5)
	v_mul_f32_e32 v46, v63, v25
	v_mul_f32_e32 v2, v63, v24
	v_fmac_f32_e32 v46, v62, v24
	v_fma_f32 v24, v62, v25, -v2
	s_waitcnt lgkmcnt(4)
	v_mul_f32_e32 v25, v65, v21
	v_mul_f32_e32 v2, v65, v20
	v_fmac_f32_e32 v25, v64, v20
	v_fma_f32 v20, v64, v21, -v2
	v_mul_f32_e32 v21, v67, v27
	v_mul_f32_e32 v2, v67, v26
	v_fmac_f32_e32 v21, v66, v26
	v_fma_f32 v26, v66, v27, -v2
	;; [unrolled: 4-line block ×3, first 2 shown]
	s_waitcnt lgkmcnt(2)
	v_mul_f32_e32 v2, v71, v16
	v_fma_f32 v47, v70, v17, -v2
	s_waitcnt lgkmcnt(1)
	v_mul_f32_e32 v2, v77, v12
	v_fma_f32 v49, v76, v13, -v2
	v_mul_f32_e32 v2, v79, v18
	v_fma_f32 v51, v78, v19, -v2
	;; [unrolled: 2-line block ×3, first 2 shown]
	s_waitcnt lgkmcnt(0)
	v_mul_f32_e32 v2, v75, v38
	v_add_f32_e32 v3, v44, v46
	v_mul_f32_e32 v48, v77, v13
	v_mul_f32_e32 v54, v75, v39
	v_fma_f32 v39, v74, v39, -v2
	v_add_f32_e32 v2, v4, v44
	v_fma_f32 v4, -0.5, v3, v4
	v_fmac_f32_e32 v48, v76, v12
	v_sub_f32_e32 v3, v45, v24
	v_mov_b32_e32 v12, v4
	v_add_f32_e32 v13, v45, v24
	v_mul_f32_e32 v52, v73, v15
	v_fmac_f32_e32 v12, 0xbf5db3d7, v3
	v_fmac_f32_e32 v4, 0x3f5db3d7, v3
	v_add_f32_e32 v3, v5, v45
	v_fma_f32 v5, -0.5, v13, v5
	v_fmac_f32_e32 v52, v72, v14
	v_sub_f32_e32 v14, v44, v46
	v_mov_b32_e32 v13, v5
	v_add_f32_e32 v15, v25, v21
	v_mul_f32_e32 v23, v71, v17
	v_fmac_f32_e32 v13, 0x3f5db3d7, v14
	v_fmac_f32_e32 v5, 0xbf5db3d7, v14
	;; [unrolled: 9-line block ×3, first 2 shown]
	v_add_f32_e32 v15, v7, v20
	v_fmac_f32_e32 v7, -0.5, v17
	v_fmac_f32_e32 v50, v78, v18
	v_sub_f32_e32 v18, v25, v21
	v_mov_b32_e32 v17, v7
	v_add_f32_e32 v19, v27, v23
	v_fmac_f32_e32 v17, 0x3f5db3d7, v18
	v_fmac_f32_e32 v7, 0xbf5db3d7, v18
	v_add_f32_e32 v18, v8, v27
	v_fma_f32 v8, -0.5, v19, v8
	v_add_f32_e32 v14, v14, v21
	v_sub_f32_e32 v19, v22, v47
	v_mov_b32_e32 v20, v8
	v_add_f32_e32 v21, v22, v47
	v_fmac_f32_e32 v20, 0xbf5db3d7, v19
	v_fmac_f32_e32 v8, 0x3f5db3d7, v19
	v_add_f32_e32 v19, v9, v22
	v_fma_f32 v9, -0.5, v21, v9
	v_add_f32_e32 v18, v18, v23
	;; [unrolled: 8-line block ×3, first 2 shown]
	v_sub_f32_e32 v23, v49, v51
	v_mov_b32_e32 v24, v10
	v_add_f32_e32 v25, v49, v51
	v_fmac_f32_e32 v54, v74, v38
	v_fmac_f32_e32 v24, 0xbf5db3d7, v23
	;; [unrolled: 1-line block ×3, first 2 shown]
	v_add_f32_e32 v23, v11, v49
	v_fmac_f32_e32 v11, -0.5, v25
	v_add_f32_e32 v15, v15, v26
	v_sub_f32_e32 v26, v48, v50
	v_mov_b32_e32 v25, v11
	v_add_f32_e32 v27, v52, v54
	v_fmac_f32_e32 v25, 0x3f5db3d7, v26
	v_fmac_f32_e32 v11, 0xbf5db3d7, v26
	v_add_f32_e32 v26, v0, v52
	v_fma_f32 v0, -0.5, v27, v0
	v_sub_f32_e32 v27, v53, v39
	v_mov_b32_e32 v38, v0
	v_fmac_f32_e32 v38, 0xbf5db3d7, v27
	v_fmac_f32_e32 v0, 0x3f5db3d7, v27
	v_add_f32_e32 v27, v1, v53
	v_add_f32_e32 v27, v27, v39
	;; [unrolled: 1-line block ×3, first 2 shown]
	v_fmac_f32_e32 v1, -0.5, v39
	v_sub_f32_e32 v44, v52, v54
	v_mov_b32_e32 v39, v1
	v_add_f32_e32 v2, v2, v46
	v_add_f32_e32 v19, v19, v47
	;; [unrolled: 1-line block ×5, first 2 shown]
	v_fmac_f32_e32 v39, 0x3f5db3d7, v44
	v_fmac_f32_e32 v1, 0xbf5db3d7, v44
	ds_write_b64 v149, v[12:13] offset:3840
	ds_write_b64 v149, v[4:5] offset:7680
	ds_write2_b64 v149, v[2:3], v[14:15] offset1:90
	ds_write_b64 v149, v[6:7] offset:8400
	ds_write2_b64 v43, v[16:17], v[20:21] offset0:58 offset1:148
	ds_write2_b64 v42, v[18:19], v[22:23] offset0:52 offset1:142
	;; [unrolled: 1-line block ×3, first 2 shown]
	ds_write_b64 v149, v[26:27] offset:2880
	ds_write2_b64 v40, v[24:25], v[38:39] offset0:110 offset1:200
	ds_write_b64 v149, v[0:1] offset:10560
	s_and_saveexec_b64 s[4:5], s[2:3]
	s_cbranch_execz .LBB0_29
; %bb.28:
	v_mul_f32_e32 v0, v33, v36
	v_fma_f32 v2, v32, v37, -v0
	v_mul_f32_e32 v0, v35, v28
	v_fma_f32 v4, v34, v29, -v0
	v_add_f32_e32 v0, v2, v4
	v_mul_f32_e32 v6, v33, v37
	v_mul_f32_e32 v7, v35, v29
	v_fma_f32 v1, -0.5, v0, v31
	v_fmac_f32_e32 v6, v32, v36
	v_fmac_f32_e32 v7, v34, v28
	v_sub_f32_e32 v0, v6, v7
	v_mov_b32_e32 v3, v1
	v_fmac_f32_e32 v3, 0xbf5db3d7, v0
	v_fmac_f32_e32 v1, 0x3f5db3d7, v0
	v_add_f32_e32 v0, v31, v2
	v_add_f32_e32 v5, v0, v4
	;; [unrolled: 1-line block ×3, first 2 shown]
	v_fma_f32 v0, -0.5, v0, v30
	v_sub_f32_e32 v4, v2, v4
	v_mov_b32_e32 v2, v0
	v_fmac_f32_e32 v2, 0x3f5db3d7, v4
	v_fmac_f32_e32 v0, 0xbf5db3d7, v4
	v_add_f32_e32 v4, v30, v6
	v_add_f32_e32 v4, v4, v7
	ds_write_b64 v149, v[4:5] offset:3600
	ds_write_b64 v149, v[0:1] offset:7440
	;; [unrolled: 1-line block ×3, first 2 shown]
.LBB0_29:
	s_or_b64 exec, exec, s[4:5]
	s_waitcnt lgkmcnt(0)
	s_barrier
	ds_read2_b64 v[0:3], v149 offset1:144
	v_mad_u64_u32 v[4:5], s[2:3], s14, v126, 0
	s_mov_b32 s2, 0x16c16c17
	s_mov_b32 s3, 0x3f46c16c
	s_waitcnt lgkmcnt(0)
	v_mul_f32_e32 v6, v140, v1
	v_fmac_f32_e32 v6, v139, v0
	v_cvt_f64_f32_e32 v[6:7], v6
	v_mul_f32_e32 v0, v140, v0
	v_fma_f32 v0, v139, v1, -v0
	v_cvt_f64_f32_e32 v[0:1], v0
	v_mul_f64 v[6:7], v[6:7], s[2:3]
	v_mad_u64_u32 v[8:9], s[4:5], s12, v122, 0
	v_mul_f64 v[0:1], v[0:1], s[2:3]
	s_mul_i32 s7, s13, 0x900
	s_movk_i32 s6, 0x1000
	v_mad_u64_u32 v[10:11], s[4:5], s15, v126, v[5:6]
	v_mov_b32_e32 v5, v9
	v_mad_u64_u32 v[11:12], s[4:5], s13, v122, v[5:6]
	v_mov_b32_e32 v5, v10
	v_cvt_f32_f64_e32 v6, v[6:7]
	v_cvt_f32_f64_e32 v7, v[0:1]
	v_lshlrev_b64 v[0:1], 3, v[4:5]
	v_mul_f32_e32 v4, v138, v3
	v_fmac_f32_e32 v4, v137, v2
	v_cvt_f64_f32_e32 v[4:5], v4
	v_mov_b32_e32 v10, s11
	v_add_co_u32_e32 v14, vcc, s10, v0
	v_mul_f32_e32 v2, v138, v2
	v_addc_co_u32_e32 v15, vcc, v10, v1, vcc
	v_mul_f64 v[0:1], v[4:5], s[2:3]
	v_fma_f32 v2, v137, v3, -v2
	v_cvt_f64_f32_e32 v[2:3], v2
	v_mov_b32_e32 v9, v11
	v_lshlrev_b64 v[4:5], 3, v[8:9]
	s_mul_i32 s4, s13, 0x90
	v_mul_f64 v[8:9], v[2:3], s[2:3]
	v_add_co_u32_e32 v4, vcc, v14, v4
	v_addc_co_u32_e32 v5, vcc, v15, v5, vcc
	global_store_dwordx2 v[4:5], v[6:7], off
	v_cvt_f32_f64_e32 v6, v[0:1]
	v_add_u32_e32 v0, 0x800, v149
	ds_read2_b64 v[0:3], v0 offset0:32 offset1:176
	v_cvt_f32_f64_e32 v7, v[8:9]
	s_mul_hi_u32 s5, s12, 0x90
	s_add_i32 s5, s5, s4
	s_mul_i32 s4, s12, 0x90
	s_waitcnt lgkmcnt(0)
	v_mul_f32_e32 v8, v132, v1
	v_fmac_f32_e32 v8, v131, v0
	v_mul_f32_e32 v0, v132, v0
	v_fma_f32 v0, v131, v1, -v0
	v_cvt_f64_f32_e32 v[0:1], v0
	v_cvt_f64_f32_e32 v[8:9], v8
	s_lshl_b64 s[4:5], s[4:5], 3
	v_mov_b32_e32 v16, s5
	v_mul_f64 v[0:1], v[0:1], s[2:3]
	v_mul_f64 v[8:9], v[8:9], s[2:3]
	v_add_co_u32_e32 v4, vcc, s4, v4
	v_addc_co_u32_e32 v5, vcc, v5, v16, vcc
	global_store_dwordx2 v[4:5], v[6:7], off
	v_add_co_u32_e32 v4, vcc, s4, v4
	v_cvt_f32_f64_e32 v7, v[0:1]
	v_mul_f32_e32 v0, v128, v3
	v_fmac_f32_e32 v0, v127, v2
	v_cvt_f32_f64_e32 v6, v[8:9]
	v_cvt_f64_f32_e32 v[8:9], v0
	v_mul_f32_e32 v0, v128, v2
	v_fma_f32 v0, v127, v3, -v0
	v_cvt_f64_f32_e32 v[10:11], v0
	v_add_u32_e32 v0, 0x1000, v149
	ds_read2_b64 v[0:3], v0 offset0:64 offset1:208
	v_addc_co_u32_e32 v5, vcc, v5, v16, vcc
	global_store_dwordx2 v[4:5], v[6:7], off
	v_mul_f64 v[6:7], v[8:9], s[2:3]
	v_mul_f64 v[8:9], v[10:11], s[2:3]
	s_waitcnt lgkmcnt(0)
	v_mul_f32_e32 v10, v136, v1
	v_fmac_f32_e32 v10, v135, v0
	v_mul_f32_e32 v0, v136, v0
	v_fma_f32 v0, v135, v1, -v0
	v_cvt_f64_f32_e32 v[0:1], v0
	v_cvt_f64_f32_e32 v[10:11], v10
	v_cvt_f32_f64_e32 v6, v[6:7]
	v_cvt_f32_f64_e32 v7, v[8:9]
	v_mul_f64 v[0:1], v[0:1], s[2:3]
	v_mul_f64 v[8:9], v[10:11], s[2:3]
	v_add_co_u32_e32 v4, vcc, s4, v4
	v_addc_co_u32_e32 v5, vcc, v5, v16, vcc
	global_store_dwordx2 v[4:5], v[6:7], off
	v_add_co_u32_e32 v4, vcc, s4, v4
	v_cvt_f32_f64_e32 v7, v[0:1]
	v_mul_f32_e32 v0, v134, v3
	v_fmac_f32_e32 v0, v133, v2
	v_cvt_f32_f64_e32 v6, v[8:9]
	v_cvt_f64_f32_e32 v[8:9], v0
	v_mul_f32_e32 v0, v134, v2
	v_fma_f32 v0, v133, v3, -v0
	v_cvt_f64_f32_e32 v[10:11], v0
	v_add_u32_e32 v0, 0x1800, v149
	ds_read2_b64 v[0:3], v0 offset0:96 offset1:240
	v_mul_f64 v[8:9], v[8:9], s[2:3]
	v_mul_f64 v[10:11], v[10:11], s[2:3]
	v_addc_co_u32_e32 v5, vcc, v5, v16, vcc
	s_waitcnt lgkmcnt(0)
	v_mul_f32_e32 v12, v130, v1
	v_fmac_f32_e32 v12, v129, v0
	v_mul_f32_e32 v0, v130, v0
	v_fma_f32 v0, v129, v1, -v0
	v_cvt_f64_f32_e32 v[12:13], v12
	v_cvt_f64_f32_e32 v[0:1], v0
	global_store_dwordx2 v[4:5], v[6:7], off
	v_cvt_f32_f64_e32 v6, v[8:9]
	v_mul_f64 v[8:9], v[12:13], s[2:3]
	v_mul_f64 v[0:1], v[0:1], s[2:3]
	v_cvt_f32_f64_e32 v7, v[10:11]
	v_add_co_u32_e32 v10, vcc, s4, v4
	v_addc_co_u32_e32 v11, vcc, v5, v16, vcc
	global_store_dwordx2 v[10:11], v[6:7], off
	v_cvt_f32_f64_e32 v7, v[8:9]
	v_cvt_f32_f64_e32 v8, v[0:1]
	v_mul_f32_e32 v0, v125, v3
	v_fmac_f32_e32 v0, v124, v2
	v_mul_f32_e32 v2, v125, v2
	v_fma_f32 v2, v124, v3, -v2
	v_cvt_f64_f32_e32 v[12:13], v2
	v_add_u32_e32 v2, 0x2400, v149
	v_cvt_f64_f32_e32 v[0:1], v0
	ds_read2_b64 v[3:6], v2 offset1:144
	v_add_co_u32_e32 v9, vcc, s4, v10
	v_addc_co_u32_e32 v10, vcc, v11, v16, vcc
	global_store_dwordx2 v[9:10], v[7:8], off
	v_mul_f64 v[0:1], v[0:1], s[2:3]
	v_mul_f64 v[7:8], v[12:13], s[2:3]
	s_waitcnt lgkmcnt(0)
	v_mul_f32_e32 v11, v121, v4
	v_fmac_f32_e32 v11, v120, v3
	v_mul_f32_e32 v3, v121, v3
	v_fma_f32 v3, v120, v4, -v3
	v_cvt_f64_f32_e32 v[11:12], v11
	v_cvt_f64_f32_e32 v[3:4], v3
	v_cvt_f32_f64_e32 v0, v[0:1]
	v_cvt_f32_f64_e32 v1, v[7:8]
	v_mul_f64 v[7:8], v[11:12], s[2:3]
	v_mul_f64 v[3:4], v[3:4], s[2:3]
	v_mad_u64_u32 v[11:12], s[8:9], s12, v150, 0
	v_add_co_u32_e32 v9, vcc, s4, v9
	v_addc_co_u32_e32 v10, vcc, v10, v16, vcc
	global_store_dwordx2 v[9:10], v[0:1], off
	v_mov_b32_e32 v0, v12
	v_mad_u64_u32 v[0:1], s[8:9], s13, v150, v[0:1]
	v_mul_f32_e32 v1, v119, v6
	v_fmac_f32_e32 v1, v118, v5
	v_cvt_f32_f64_e32 v7, v[7:8]
	v_cvt_f32_f64_e32 v8, v[3:4]
	v_cvt_f64_f32_e32 v[3:4], v1
	v_mul_f32_e32 v1, v119, v5
	v_fma_f32 v1, v118, v6, -v1
	v_cvt_f64_f32_e32 v[5:6], v1
	v_mul_f64 v[3:4], v[3:4], s[2:3]
	v_mov_b32_e32 v12, v0
	v_lshlrev_b64 v[0:1], 3, v[11:12]
	v_mul_f64 v[5:6], v[5:6], s[2:3]
	v_add_co_u32_e32 v11, vcc, v14, v0
	v_mov_b32_e32 v0, 0x900
	v_addc_co_u32_e32 v12, vcc, v15, v1, vcc
	v_mad_u64_u32 v[0:1], s[8:9], s12, v0, v[9:10]
	v_cvt_f32_f64_e32 v3, v[3:4]
	v_cvt_f32_f64_e32 v4, v[5:6]
	v_add_u32_e32 v1, s7, v1
	global_store_dwordx2 v[11:12], v[7:8], off
	global_store_dwordx2 v[0:1], v[3:4], off
	s_and_b64 exec, exec, s[0:1]
	s_cbranch_execz .LBB0_31
; %bb.30:
	global_load_dwordx2 v[7:8], v[116:117], off offset:720
	ds_read2_b64 v[3:6], v149 offset0:90 offset1:234
	v_mov_b32_e32 v11, s5
	s_waitcnt vmcnt(0) lgkmcnt(0)
	v_mul_f32_e32 v9, v4, v8
	v_mul_f32_e32 v8, v3, v8
	v_fmac_f32_e32 v9, v3, v7
	v_fma_f32 v7, v7, v4, -v8
	v_cvt_f64_f32_e32 v[3:4], v9
	v_cvt_f64_f32_e32 v[7:8], v7
	v_mov_b32_e32 v9, 0xffffda50
	v_mad_u64_u32 v[0:1], s[0:1], s12, v9, v[0:1]
	v_mul_f64 v[3:4], v[3:4], s[2:3]
	v_mul_f64 v[7:8], v[7:8], s[2:3]
	s_mul_i32 s0, s13, 0xffffda50
	s_sub_i32 s0, s0, s12
	v_add_u32_e32 v1, s0, v1
	s_movk_i32 s0, 0x2000
	v_cvt_f32_f64_e32 v3, v[3:4]
	v_cvt_f32_f64_e32 v4, v[7:8]
	global_store_dwordx2 v[0:1], v[3:4], off
	global_load_dwordx2 v[3:4], v[116:117], off offset:1872
	v_add_co_u32_e32 v0, vcc, s4, v0
	v_addc_co_u32_e32 v1, vcc, v1, v11, vcc
	s_waitcnt vmcnt(0)
	v_mul_f32_e32 v7, v6, v4
	v_mul_f32_e32 v4, v5, v4
	v_fmac_f32_e32 v7, v5, v3
	v_fma_f32 v5, v3, v6, -v4
	v_cvt_f64_f32_e32 v[3:4], v7
	v_cvt_f64_f32_e32 v[5:6], v5
	v_mul_f64 v[3:4], v[3:4], s[2:3]
	v_mul_f64 v[5:6], v[5:6], s[2:3]
	v_cvt_f32_f64_e32 v3, v[3:4]
	v_cvt_f32_f64_e32 v4, v[5:6]
	global_store_dwordx2 v[0:1], v[3:4], off
	global_load_dwordx2 v[7:8], v[116:117], off offset:3024
	v_add_u32_e32 v3, 0xa00, v149
	ds_read2_b64 v[3:6], v3 offset0:58 offset1:202
	s_waitcnt vmcnt(0) lgkmcnt(0)
	v_mul_f32_e32 v9, v4, v8
	v_mul_f32_e32 v8, v3, v8
	v_fmac_f32_e32 v9, v3, v7
	v_fma_f32 v7, v7, v4, -v8
	v_cvt_f64_f32_e32 v[3:4], v9
	v_cvt_f64_f32_e32 v[7:8], v7
	v_add_co_u32_e32 v9, vcc, s6, v116
	v_mul_f64 v[3:4], v[3:4], s[2:3]
	v_mul_f64 v[7:8], v[7:8], s[2:3]
	v_addc_co_u32_e32 v10, vcc, 0, v117, vcc
	v_add_co_u32_e32 v0, vcc, s4, v0
	v_addc_co_u32_e32 v1, vcc, v1, v11, vcc
	v_cvt_f32_f64_e32 v3, v[3:4]
	v_cvt_f32_f64_e32 v4, v[7:8]
	global_store_dwordx2 v[0:1], v[3:4], off
	global_load_dwordx2 v[3:4], v[9:10], off offset:80
	v_add_co_u32_e32 v0, vcc, s4, v0
	v_addc_co_u32_e32 v1, vcc, v1, v11, vcc
	s_waitcnt vmcnt(0)
	v_mul_f32_e32 v7, v6, v4
	v_mul_f32_e32 v4, v5, v4
	v_fmac_f32_e32 v7, v5, v3
	v_fma_f32 v5, v3, v6, -v4
	v_cvt_f64_f32_e32 v[3:4], v7
	v_cvt_f64_f32_e32 v[5:6], v5
	v_mul_f64 v[3:4], v[3:4], s[2:3]
	v_mul_f64 v[5:6], v[5:6], s[2:3]
	v_cvt_f32_f64_e32 v3, v[3:4]
	v_cvt_f32_f64_e32 v4, v[5:6]
	global_store_dwordx2 v[0:1], v[3:4], off
	global_load_dwordx2 v[7:8], v[9:10], off offset:1232
	v_add_u32_e32 v3, 0x1400, v149
	ds_read2_b64 v[3:6], v3 offset0:26 offset1:170
	v_add_co_u32_e32 v0, vcc, s4, v0
	v_addc_co_u32_e32 v1, vcc, v1, v11, vcc
	s_waitcnt vmcnt(0) lgkmcnt(0)
	v_mul_f32_e32 v12, v4, v8
	v_mul_f32_e32 v8, v3, v8
	v_fmac_f32_e32 v12, v3, v7
	v_fma_f32 v7, v7, v4, -v8
	v_cvt_f64_f32_e32 v[3:4], v12
	v_cvt_f64_f32_e32 v[7:8], v7
	v_mul_f64 v[3:4], v[3:4], s[2:3]
	v_mul_f64 v[7:8], v[7:8], s[2:3]
	v_cvt_f32_f64_e32 v3, v[3:4]
	v_cvt_f32_f64_e32 v4, v[7:8]
	global_store_dwordx2 v[0:1], v[3:4], off
	global_load_dwordx2 v[3:4], v[9:10], off offset:2384
	v_add_co_u32_e32 v0, vcc, s4, v0
	v_addc_co_u32_e32 v1, vcc, v1, v11, vcc
	s_waitcnt vmcnt(0)
	v_mul_f32_e32 v7, v6, v4
	v_mul_f32_e32 v4, v5, v4
	v_fmac_f32_e32 v7, v5, v3
	v_fma_f32 v5, v3, v6, -v4
	v_cvt_f64_f32_e32 v[3:4], v7
	v_cvt_f64_f32_e32 v[5:6], v5
	v_mul_f64 v[3:4], v[3:4], s[2:3]
	v_mul_f64 v[5:6], v[5:6], s[2:3]
	v_cvt_f32_f64_e32 v3, v[3:4]
	v_cvt_f32_f64_e32 v4, v[5:6]
	global_store_dwordx2 v[0:1], v[3:4], off
	global_load_dwordx2 v[7:8], v[9:10], off offset:3536
	v_add_u32_e32 v3, 0x1c00, v149
	ds_read2_b64 v[3:6], v3 offset0:58 offset1:202
	s_waitcnt vmcnt(0) lgkmcnt(0)
	v_mul_f32_e32 v9, v4, v8
	v_mul_f32_e32 v8, v3, v8
	v_fmac_f32_e32 v9, v3, v7
	v_fma_f32 v7, v7, v4, -v8
	v_cvt_f64_f32_e32 v[3:4], v9
	v_cvt_f64_f32_e32 v[7:8], v7
	v_add_co_u32_e32 v9, vcc, s0, v116
	v_mul_f64 v[3:4], v[3:4], s[2:3]
	v_mul_f64 v[7:8], v[7:8], s[2:3]
	v_addc_co_u32_e32 v10, vcc, 0, v117, vcc
	v_add_co_u32_e32 v0, vcc, s4, v0
	v_addc_co_u32_e32 v1, vcc, v1, v11, vcc
	v_cvt_f32_f64_e32 v3, v[3:4]
	v_cvt_f32_f64_e32 v4, v[7:8]
	global_store_dwordx2 v[0:1], v[3:4], off
	global_load_dwordx2 v[3:4], v[9:10], off offset:592
	s_waitcnt vmcnt(0)
	v_mul_f32_e32 v7, v6, v4
	v_mul_f32_e32 v4, v5, v4
	v_fmac_f32_e32 v7, v5, v3
	v_fma_f32 v5, v3, v6, -v4
	v_cvt_f64_f32_e32 v[3:4], v7
	v_cvt_f64_f32_e32 v[5:6], v5
	v_mul_f64 v[3:4], v[3:4], s[2:3]
	v_mul_f64 v[5:6], v[5:6], s[2:3]
	v_cvt_f32_f64_e32 v3, v[3:4]
	v_cvt_f32_f64_e32 v4, v[5:6]
	v_add_co_u32_e32 v5, vcc, s4, v0
	v_addc_co_u32_e32 v6, vcc, v1, v11, vcc
	global_store_dwordx2 v[5:6], v[3:4], off
	global_load_dwordx2 v[7:8], v[9:10], off offset:1744
	ds_read2_b64 v[0:3], v2 offset0:90 offset1:234
	s_waitcnt vmcnt(0) lgkmcnt(0)
	v_mul_f32_e32 v4, v1, v8
	v_mul_f32_e32 v8, v0, v8
	v_fmac_f32_e32 v4, v0, v7
	v_fma_f32 v7, v7, v1, -v8
	v_cvt_f64_f32_e32 v[0:1], v4
	v_cvt_f64_f32_e32 v[7:8], v7
	v_add_co_u32_e32 v4, vcc, s4, v5
	v_mul_f64 v[0:1], v[0:1], s[2:3]
	v_mul_f64 v[7:8], v[7:8], s[2:3]
	v_addc_co_u32_e32 v5, vcc, v6, v11, vcc
	v_cvt_f32_f64_e32 v0, v[0:1]
	v_cvt_f32_f64_e32 v1, v[7:8]
	global_store_dwordx2 v[4:5], v[0:1], off
	global_load_dwordx2 v[0:1], v[9:10], off offset:2896
	s_waitcnt vmcnt(0)
	v_mul_f32_e32 v6, v3, v1
	v_mul_f32_e32 v1, v2, v1
	v_fmac_f32_e32 v6, v2, v0
	v_fma_f32 v2, v0, v3, -v1
	v_cvt_f64_f32_e32 v[0:1], v6
	v_cvt_f64_f32_e32 v[2:3], v2
	v_mul_f64 v[0:1], v[0:1], s[2:3]
	v_mul_f64 v[2:3], v[2:3], s[2:3]
	v_cvt_f32_f64_e32 v0, v[0:1]
	v_cvt_f32_f64_e32 v1, v[2:3]
	v_add_co_u32_e32 v2, vcc, s4, v4
	v_addc_co_u32_e32 v3, vcc, v5, v11, vcc
	global_store_dwordx2 v[2:3], v[0:1], off
.LBB0_31:
	s_endpgm
	.section	.rodata,"a",@progbits
	.p2align	6, 0x0
	.amdhsa_kernel bluestein_single_fwd_len1440_dim1_sp_op_CI_CI
		.amdhsa_group_segment_fixed_size 11520
		.amdhsa_private_segment_fixed_size 0
		.amdhsa_kernarg_size 104
		.amdhsa_user_sgpr_count 6
		.amdhsa_user_sgpr_private_segment_buffer 1
		.amdhsa_user_sgpr_dispatch_ptr 0
		.amdhsa_user_sgpr_queue_ptr 0
		.amdhsa_user_sgpr_kernarg_segment_ptr 1
		.amdhsa_user_sgpr_dispatch_id 0
		.amdhsa_user_sgpr_flat_scratch_init 0
		.amdhsa_user_sgpr_private_segment_size 0
		.amdhsa_uses_dynamic_stack 0
		.amdhsa_system_sgpr_private_segment_wavefront_offset 0
		.amdhsa_system_sgpr_workgroup_id_x 1
		.amdhsa_system_sgpr_workgroup_id_y 0
		.amdhsa_system_sgpr_workgroup_id_z 0
		.amdhsa_system_sgpr_workgroup_info 0
		.amdhsa_system_vgpr_workitem_id 0
		.amdhsa_next_free_vgpr 190
		.amdhsa_next_free_sgpr 21
		.amdhsa_reserve_vcc 1
		.amdhsa_reserve_flat_scratch 0
		.amdhsa_float_round_mode_32 0
		.amdhsa_float_round_mode_16_64 0
		.amdhsa_float_denorm_mode_32 3
		.amdhsa_float_denorm_mode_16_64 3
		.amdhsa_dx10_clamp 1
		.amdhsa_ieee_mode 1
		.amdhsa_fp16_overflow 0
		.amdhsa_exception_fp_ieee_invalid_op 0
		.amdhsa_exception_fp_denorm_src 0
		.amdhsa_exception_fp_ieee_div_zero 0
		.amdhsa_exception_fp_ieee_overflow 0
		.amdhsa_exception_fp_ieee_underflow 0
		.amdhsa_exception_fp_ieee_inexact 0
		.amdhsa_exception_int_div_zero 0
	.end_amdhsa_kernel
	.text
.Lfunc_end0:
	.size	bluestein_single_fwd_len1440_dim1_sp_op_CI_CI, .Lfunc_end0-bluestein_single_fwd_len1440_dim1_sp_op_CI_CI
                                        ; -- End function
	.section	.AMDGPU.csdata,"",@progbits
; Kernel info:
; codeLenInByte = 16612
; NumSgprs: 25
; NumVgprs: 190
; ScratchSize: 0
; MemoryBound: 0
; FloatMode: 240
; IeeeMode: 1
; LDSByteSize: 11520 bytes/workgroup (compile time only)
; SGPRBlocks: 3
; VGPRBlocks: 47
; NumSGPRsForWavesPerEU: 25
; NumVGPRsForWavesPerEU: 190
; Occupancy: 1
; WaveLimiterHint : 1
; COMPUTE_PGM_RSRC2:SCRATCH_EN: 0
; COMPUTE_PGM_RSRC2:USER_SGPR: 6
; COMPUTE_PGM_RSRC2:TRAP_HANDLER: 0
; COMPUTE_PGM_RSRC2:TGID_X_EN: 1
; COMPUTE_PGM_RSRC2:TGID_Y_EN: 0
; COMPUTE_PGM_RSRC2:TGID_Z_EN: 0
; COMPUTE_PGM_RSRC2:TIDIG_COMP_CNT: 0
	.type	__hip_cuid_7860868c37038bd6,@object ; @__hip_cuid_7860868c37038bd6
	.section	.bss,"aw",@nobits
	.globl	__hip_cuid_7860868c37038bd6
__hip_cuid_7860868c37038bd6:
	.byte	0                               ; 0x0
	.size	__hip_cuid_7860868c37038bd6, 1

	.ident	"AMD clang version 19.0.0git (https://github.com/RadeonOpenCompute/llvm-project roc-6.4.0 25133 c7fe45cf4b819c5991fe208aaa96edf142730f1d)"
	.section	".note.GNU-stack","",@progbits
	.addrsig
	.addrsig_sym __hip_cuid_7860868c37038bd6
	.amdgpu_metadata
---
amdhsa.kernels:
  - .args:
      - .actual_access:  read_only
        .address_space:  global
        .offset:         0
        .size:           8
        .value_kind:     global_buffer
      - .actual_access:  read_only
        .address_space:  global
        .offset:         8
        .size:           8
        .value_kind:     global_buffer
      - .actual_access:  read_only
        .address_space:  global
        .offset:         16
        .size:           8
        .value_kind:     global_buffer
      - .actual_access:  read_only
        .address_space:  global
        .offset:         24
        .size:           8
        .value_kind:     global_buffer
      - .actual_access:  read_only
        .address_space:  global
        .offset:         32
        .size:           8
        .value_kind:     global_buffer
      - .offset:         40
        .size:           8
        .value_kind:     by_value
      - .address_space:  global
        .offset:         48
        .size:           8
        .value_kind:     global_buffer
      - .address_space:  global
        .offset:         56
        .size:           8
        .value_kind:     global_buffer
      - .address_space:  global
        .offset:         64
        .size:           8
        .value_kind:     global_buffer
      - .address_space:  global
        .offset:         72
        .size:           8
        .value_kind:     global_buffer
      - .offset:         80
        .size:           4
        .value_kind:     by_value
      - .address_space:  global
        .offset:         88
        .size:           8
        .value_kind:     global_buffer
      - .address_space:  global
        .offset:         96
        .size:           8
        .value_kind:     global_buffer
    .group_segment_fixed_size: 11520
    .kernarg_segment_align: 8
    .kernarg_segment_size: 104
    .language:       OpenCL C
    .language_version:
      - 2
      - 0
    .max_flat_workgroup_size: 90
    .name:           bluestein_single_fwd_len1440_dim1_sp_op_CI_CI
    .private_segment_fixed_size: 0
    .sgpr_count:     25
    .sgpr_spill_count: 0
    .symbol:         bluestein_single_fwd_len1440_dim1_sp_op_CI_CI.kd
    .uniform_work_group_size: 1
    .uses_dynamic_stack: false
    .vgpr_count:     190
    .vgpr_spill_count: 0
    .wavefront_size: 64
amdhsa.target:   amdgcn-amd-amdhsa--gfx906
amdhsa.version:
  - 1
  - 2
...

	.end_amdgpu_metadata
